;; amdgpu-corpus repo=ROCm/rocFFT kind=compiled arch=gfx1030 opt=O3
	.text
	.amdgcn_target "amdgcn-amd-amdhsa--gfx1030"
	.amdhsa_code_object_version 6
	.protected	fft_rtc_back_len182_factors_13_2_7_wgs_52_tpt_13_half_op_CI_CI_unitstride_sbrr_dirReg ; -- Begin function fft_rtc_back_len182_factors_13_2_7_wgs_52_tpt_13_half_op_CI_CI_unitstride_sbrr_dirReg
	.globl	fft_rtc_back_len182_factors_13_2_7_wgs_52_tpt_13_half_op_CI_CI_unitstride_sbrr_dirReg
	.p2align	8
	.type	fft_rtc_back_len182_factors_13_2_7_wgs_52_tpt_13_half_op_CI_CI_unitstride_sbrr_dirReg,@function
fft_rtc_back_len182_factors_13_2_7_wgs_52_tpt_13_half_op_CI_CI_unitstride_sbrr_dirReg: ; @fft_rtc_back_len182_factors_13_2_7_wgs_52_tpt_13_half_op_CI_CI_unitstride_sbrr_dirReg
; %bb.0:
	s_clause 0x2
	s_load_dwordx4 s[12:15], s[4:5], 0x0
	s_load_dwordx4 s[8:11], s[4:5], 0x58
	;; [unrolled: 1-line block ×3, first 2 shown]
	v_mul_u32_u24_e32 v1, 0x13b2, v0
	v_mov_b32_e32 v3, 0
	v_mov_b32_e32 v7, 0
	;; [unrolled: 1-line block ×3, first 2 shown]
	v_lshrrev_b32_e32 v12, 16, v1
	v_mov_b32_e32 v10, v3
	v_lshl_add_u32 v9, s6, 2, v12
	s_waitcnt lgkmcnt(0)
	v_cmp_lt_u64_e64 s0, s[14:15], 2
	s_and_b32 vcc_lo, exec_lo, s0
	s_cbranch_vccnz .LBB0_8
; %bb.1:
	s_load_dwordx2 s[0:1], s[4:5], 0x10
	v_mov_b32_e32 v7, 0
	v_mov_b32_e32 v8, 0
	s_add_u32 s2, s18, 8
	s_addc_u32 s3, s19, 0
	v_mov_b32_e32 v1, v7
	s_add_u32 s6, s16, 8
	v_mov_b32_e32 v2, v8
	s_addc_u32 s7, s17, 0
	s_mov_b64 s[22:23], 1
	s_waitcnt lgkmcnt(0)
	s_add_u32 s20, s0, 8
	s_addc_u32 s21, s1, 0
.LBB0_2:                                ; =>This Inner Loop Header: Depth=1
	s_load_dwordx2 s[24:25], s[20:21], 0x0
                                        ; implicit-def: $vgpr5_vgpr6
	s_mov_b32 s0, exec_lo
	s_waitcnt lgkmcnt(0)
	v_or_b32_e32 v4, s25, v10
	v_cmpx_ne_u64_e32 0, v[3:4]
	s_xor_b32 s1, exec_lo, s0
	s_cbranch_execz .LBB0_4
; %bb.3:                                ;   in Loop: Header=BB0_2 Depth=1
	v_cvt_f32_u32_e32 v4, s24
	v_cvt_f32_u32_e32 v5, s25
	s_sub_u32 s0, 0, s24
	s_subb_u32 s26, 0, s25
	v_fmac_f32_e32 v4, 0x4f800000, v5
	v_rcp_f32_e32 v4, v4
	v_mul_f32_e32 v4, 0x5f7ffffc, v4
	v_mul_f32_e32 v5, 0x2f800000, v4
	v_trunc_f32_e32 v5, v5
	v_fmac_f32_e32 v4, 0xcf800000, v5
	v_cvt_u32_f32_e32 v5, v5
	v_cvt_u32_f32_e32 v4, v4
	v_mul_lo_u32 v6, s0, v5
	v_mul_hi_u32 v11, s0, v4
	v_mul_lo_u32 v13, s26, v4
	v_add_nc_u32_e32 v6, v11, v6
	v_mul_lo_u32 v11, s0, v4
	v_add_nc_u32_e32 v6, v6, v13
	v_mul_hi_u32 v13, v4, v11
	v_mul_lo_u32 v14, v4, v6
	v_mul_hi_u32 v15, v4, v6
	v_mul_hi_u32 v16, v5, v11
	v_mul_lo_u32 v11, v5, v11
	v_mul_hi_u32 v17, v5, v6
	v_mul_lo_u32 v6, v5, v6
	v_add_co_u32 v13, vcc_lo, v13, v14
	v_add_co_ci_u32_e32 v14, vcc_lo, 0, v15, vcc_lo
	v_add_co_u32 v11, vcc_lo, v13, v11
	v_add_co_ci_u32_e32 v11, vcc_lo, v14, v16, vcc_lo
	v_add_co_ci_u32_e32 v13, vcc_lo, 0, v17, vcc_lo
	v_add_co_u32 v6, vcc_lo, v11, v6
	v_add_co_ci_u32_e32 v11, vcc_lo, 0, v13, vcc_lo
	v_add_co_u32 v4, vcc_lo, v4, v6
	v_add_co_ci_u32_e32 v5, vcc_lo, v5, v11, vcc_lo
	v_mul_hi_u32 v6, s0, v4
	v_mul_lo_u32 v13, s26, v4
	v_mul_lo_u32 v11, s0, v5
	v_add_nc_u32_e32 v6, v6, v11
	v_mul_lo_u32 v11, s0, v4
	v_add_nc_u32_e32 v6, v6, v13
	v_mul_hi_u32 v13, v4, v11
	v_mul_lo_u32 v14, v4, v6
	v_mul_hi_u32 v15, v4, v6
	v_mul_hi_u32 v16, v5, v11
	v_mul_lo_u32 v11, v5, v11
	v_mul_hi_u32 v17, v5, v6
	v_mul_lo_u32 v6, v5, v6
	v_add_co_u32 v13, vcc_lo, v13, v14
	v_add_co_ci_u32_e32 v14, vcc_lo, 0, v15, vcc_lo
	v_add_co_u32 v11, vcc_lo, v13, v11
	v_add_co_ci_u32_e32 v11, vcc_lo, v14, v16, vcc_lo
	v_add_co_ci_u32_e32 v13, vcc_lo, 0, v17, vcc_lo
	v_add_co_u32 v6, vcc_lo, v11, v6
	v_add_co_ci_u32_e32 v11, vcc_lo, 0, v13, vcc_lo
	v_add_co_u32 v6, vcc_lo, v4, v6
	v_add_co_ci_u32_e32 v11, vcc_lo, v5, v11, vcc_lo
	v_mul_hi_u32 v17, v9, v6
	v_mad_u64_u32 v[13:14], null, v10, v6, 0
	v_mad_u64_u32 v[4:5], null, v9, v11, 0
	v_mad_u64_u32 v[15:16], null, v10, v11, 0
	v_add_co_u32 v4, vcc_lo, v17, v4
	v_add_co_ci_u32_e32 v5, vcc_lo, 0, v5, vcc_lo
	v_add_co_u32 v4, vcc_lo, v4, v13
	v_add_co_ci_u32_e32 v4, vcc_lo, v5, v14, vcc_lo
	v_add_co_ci_u32_e32 v5, vcc_lo, 0, v16, vcc_lo
	v_add_co_u32 v11, vcc_lo, v4, v15
	v_add_co_ci_u32_e32 v6, vcc_lo, 0, v5, vcc_lo
	v_mul_lo_u32 v13, s25, v11
	v_mad_u64_u32 v[4:5], null, s24, v11, 0
	v_mul_lo_u32 v14, s24, v6
	v_sub_co_u32 v4, vcc_lo, v9, v4
	v_add3_u32 v5, v5, v14, v13
	v_sub_nc_u32_e32 v13, v10, v5
	v_subrev_co_ci_u32_e64 v13, s0, s25, v13, vcc_lo
	v_add_co_u32 v14, s0, v11, 2
	v_add_co_ci_u32_e64 v15, s0, 0, v6, s0
	v_sub_co_u32 v16, s0, v4, s24
	v_sub_co_ci_u32_e32 v5, vcc_lo, v10, v5, vcc_lo
	v_subrev_co_ci_u32_e64 v13, s0, 0, v13, s0
	v_cmp_le_u32_e32 vcc_lo, s24, v16
	v_cmp_eq_u32_e64 s0, s25, v5
	v_cndmask_b32_e64 v16, 0, -1, vcc_lo
	v_cmp_le_u32_e32 vcc_lo, s25, v13
	v_cndmask_b32_e64 v17, 0, -1, vcc_lo
	v_cmp_le_u32_e32 vcc_lo, s24, v4
	;; [unrolled: 2-line block ×3, first 2 shown]
	v_cndmask_b32_e64 v18, 0, -1, vcc_lo
	v_cmp_eq_u32_e32 vcc_lo, s25, v13
	v_cndmask_b32_e64 v4, v18, v4, s0
	v_cndmask_b32_e32 v13, v17, v16, vcc_lo
	v_add_co_u32 v16, vcc_lo, v11, 1
	v_add_co_ci_u32_e32 v17, vcc_lo, 0, v6, vcc_lo
	v_cmp_ne_u32_e32 vcc_lo, 0, v13
	v_cndmask_b32_e32 v5, v17, v15, vcc_lo
	v_cndmask_b32_e32 v13, v16, v14, vcc_lo
	v_cmp_ne_u32_e32 vcc_lo, 0, v4
	v_cndmask_b32_e32 v6, v6, v5, vcc_lo
	v_cndmask_b32_e32 v5, v11, v13, vcc_lo
.LBB0_4:                                ;   in Loop: Header=BB0_2 Depth=1
	s_andn2_saveexec_b32 s0, s1
	s_cbranch_execz .LBB0_6
; %bb.5:                                ;   in Loop: Header=BB0_2 Depth=1
	v_cvt_f32_u32_e32 v4, s24
	s_sub_i32 s1, 0, s24
	v_rcp_iflag_f32_e32 v4, v4
	v_mul_f32_e32 v4, 0x4f7ffffe, v4
	v_cvt_u32_f32_e32 v4, v4
	v_mul_lo_u32 v5, s1, v4
	v_mul_hi_u32 v5, v4, v5
	v_add_nc_u32_e32 v4, v4, v5
	v_mul_hi_u32 v4, v9, v4
	v_mul_lo_u32 v5, v4, s24
	v_add_nc_u32_e32 v6, 1, v4
	v_sub_nc_u32_e32 v5, v9, v5
	v_subrev_nc_u32_e32 v11, s24, v5
	v_cmp_le_u32_e32 vcc_lo, s24, v5
	v_cndmask_b32_e32 v5, v5, v11, vcc_lo
	v_cndmask_b32_e32 v4, v4, v6, vcc_lo
	v_cmp_le_u32_e32 vcc_lo, s24, v5
	v_add_nc_u32_e32 v6, 1, v4
	v_cndmask_b32_e32 v5, v4, v6, vcc_lo
	v_mov_b32_e32 v6, v3
.LBB0_6:                                ;   in Loop: Header=BB0_2 Depth=1
	s_or_b32 exec_lo, exec_lo, s0
	v_mul_lo_u32 v4, v6, s24
	v_mul_lo_u32 v11, v5, s25
	s_load_dwordx2 s[0:1], s[6:7], 0x0
	v_mad_u64_u32 v[13:14], null, v5, s24, 0
	s_load_dwordx2 s[24:25], s[2:3], 0x0
	s_add_u32 s22, s22, 1
	s_addc_u32 s23, s23, 0
	s_add_u32 s2, s2, 8
	s_addc_u32 s3, s3, 0
	s_add_u32 s6, s6, 8
	v_add3_u32 v4, v14, v11, v4
	v_sub_co_u32 v9, vcc_lo, v9, v13
	s_addc_u32 s7, s7, 0
	s_add_u32 s20, s20, 8
	v_sub_co_ci_u32_e32 v4, vcc_lo, v10, v4, vcc_lo
	s_addc_u32 s21, s21, 0
	s_waitcnt lgkmcnt(0)
	v_mul_lo_u32 v10, s0, v4
	v_mul_lo_u32 v11, s1, v9
	v_mad_u64_u32 v[7:8], null, s0, v9, v[7:8]
	v_mul_lo_u32 v4, s24, v4
	v_mul_lo_u32 v13, s25, v9
	v_mad_u64_u32 v[1:2], null, s24, v9, v[1:2]
	v_cmp_ge_u64_e64 s0, s[22:23], s[14:15]
	v_add3_u32 v8, v11, v8, v10
	v_add3_u32 v2, v13, v2, v4
	s_and_b32 vcc_lo, exec_lo, s0
	s_cbranch_vccnz .LBB0_9
; %bb.7:                                ;   in Loop: Header=BB0_2 Depth=1
	v_mov_b32_e32 v10, v6
	v_mov_b32_e32 v9, v5
	s_branch .LBB0_2
.LBB0_8:
	v_mov_b32_e32 v1, v7
	v_mov_b32_e32 v5, v9
	;; [unrolled: 1-line block ×4, first 2 shown]
.LBB0_9:
	s_load_dwordx2 s[0:1], s[4:5], 0x28
	v_mul_hi_u32 v10, 0x13b13b14, v0
	s_lshl_b64 s[4:5], s[14:15], 3
                                        ; implicit-def: $sgpr6
                                        ; implicit-def: $vgpr3
	s_add_u32 s2, s18, s4
	s_addc_u32 s3, s19, s5
	s_waitcnt lgkmcnt(0)
	v_cmp_gt_u64_e32 vcc_lo, s[0:1], v[5:6]
	v_cmp_le_u64_e64 s0, s[0:1], v[5:6]
	s_and_saveexec_b32 s1, s0
	s_xor_b32 s0, exec_lo, s1
; %bb.10:
	v_mul_u32_u24_e32 v3, 13, v10
	s_mov_b32 s6, 0
                                        ; implicit-def: $vgpr10
                                        ; implicit-def: $vgpr7_vgpr8
	v_sub_nc_u32_e32 v3, v0, v3
                                        ; implicit-def: $vgpr0
; %bb.11:
	s_or_saveexec_b32 s1, s0
	s_load_dwordx2 s[2:3], s[2:3], 0x0
	v_mov_b32_e32 v4, s6
                                        ; implicit-def: $vgpr14
                                        ; implicit-def: $vgpr15
                                        ; implicit-def: $vgpr16
                                        ; implicit-def: $vgpr17
                                        ; implicit-def: $vgpr18
                                        ; implicit-def: $vgpr23
                                        ; implicit-def: $vgpr22
                                        ; implicit-def: $vgpr21
                                        ; implicit-def: $vgpr20
                                        ; implicit-def: $vgpr19
                                        ; implicit-def: $vgpr25
                                        ; implicit-def: $vgpr24
                                        ; implicit-def: $vgpr11
                                        ; implicit-def: $vgpr30
                                        ; implicit-def: $vgpr35
                                        ; implicit-def: $vgpr36
                                        ; implicit-def: $vgpr37
                                        ; implicit-def: $vgpr38
                                        ; implicit-def: $vgpr27
                                        ; implicit-def: $vgpr29
                                        ; implicit-def: $vgpr28
                                        ; implicit-def: $vgpr33
                                        ; implicit-def: $vgpr9
                                        ; implicit-def: $vgpr13
                                        ; implicit-def: $vgpr26
	s_xor_b32 exec_lo, exec_lo, s1
	s_cbranch_execz .LBB0_15
; %bb.12:
	s_add_u32 s4, s16, s4
	s_addc_u32 s5, s17, s5
	v_lshlrev_b64 v[7:8], 2, v[7:8]
	s_load_dwordx2 s[4:5], s[4:5], 0x0
                                        ; implicit-def: $vgpr24
                                        ; implicit-def: $vgpr25
                                        ; implicit-def: $vgpr19
                                        ; implicit-def: $vgpr20
                                        ; implicit-def: $vgpr21
                                        ; implicit-def: $vgpr22
                                        ; implicit-def: $vgpr23
                                        ; implicit-def: $vgpr18
                                        ; implicit-def: $vgpr17
                                        ; implicit-def: $vgpr16
                                        ; implicit-def: $vgpr15
	s_waitcnt lgkmcnt(0)
	v_mul_lo_u32 v9, s5, v5
	v_mul_lo_u32 v11, s4, v6
	v_mad_u64_u32 v[3:4], null, s4, v5, 0
	s_mov_b32 s4, exec_lo
	v_add3_u32 v4, v4, v11, v9
	v_mul_u32_u24_e32 v11, 13, v10
	v_lshlrev_b64 v[9:10], 2, v[3:4]
	v_sub_nc_u32_e32 v3, v0, v11
	v_add_co_u32 v0, s0, s8, v9
	v_add_co_ci_u32_e64 v4, s0, s9, v10, s0
	v_lshlrev_b32_e32 v9, 2, v3
	v_add_co_u32 v7, s0, v0, v7
	v_add_co_ci_u32_e64 v8, s0, v4, v8, s0
	v_mov_b32_e32 v4, 0
	v_add_co_u32 v13, s0, v7, v9
	v_add_co_ci_u32_e64 v14, s0, 0, v8, s0
	s_clause 0xc
	global_load_dword v28, v[13:14], off offset:112
	global_load_dword v27, v[13:14], off offset:168
	;; [unrolled: 1-line block ×7, first 2 shown]
	global_load_dword v26, v[13:14], off
	global_load_dword v36, v[13:14], off offset:448
	global_load_dword v38, v[13:14], off offset:504
	;; [unrolled: 1-line block ×5, first 2 shown]
                                        ; implicit-def: $vgpr14
	v_cmpx_eq_u32_e32 0, v3
; %bb.13:
	s_clause 0xc
	global_load_dword v4, v[7:8], off offset:52
	global_load_dword v25, v[7:8], off offset:108
	global_load_dword v24, v[7:8], off offset:164
	global_load_dword v23, v[7:8], off offset:220
	global_load_dword v22, v[7:8], off offset:276
	global_load_dword v21, v[7:8], off offset:332
	global_load_dword v20, v[7:8], off offset:388
	global_load_dword v19, v[7:8], off offset:444
	global_load_dword v18, v[7:8], off offset:500
	global_load_dword v17, v[7:8], off offset:556
	global_load_dword v16, v[7:8], off offset:612
	global_load_dword v15, v[7:8], off offset:668
	global_load_dword v14, v[7:8], off offset:724
	v_mov_b32_e32 v3, 0
; %bb.14:
	s_or_b32 exec_lo, exec_lo, s4
.LBB0_15:
	s_or_b32 exec_lo, exec_lo, s1
	s_waitcnt vmcnt(5)
	v_pk_add_f16 v0, v26, v9
	v_and_b32_e32 v12, 3, v12
	s_waitcnt vmcnt(0)
	v_pk_add_f16 v31, v9, v13 neg_lo:[0,1] neg_hi:[0,1]
	v_mov_b32_e32 v7, 0xb770
	v_pk_add_f16 v34, v9, v13
	v_pk_add_f16 v32, v0, v28
	v_mul_u32_u24_e32 v0, 0xb6, v12
	v_mov_b32_e32 v8, 0xbbf1
	v_mov_b32_e32 v10, 0xbb7b
	v_pk_mul_f16 v39, 0xba95b770, v31
	v_pk_add_f16 v12, v32, v27
	v_mul_f16_sdwa v32, v31, v7 dst_sel:DWORD dst_unused:UNUSED_PAD src0_sel:WORD_1 src1_sel:DWORD
	v_lshrrev_b32_e32 v40, 16, v34
	v_mul_f16_sdwa v42, v31, v8 dst_sel:DWORD dst_unused:UNUSED_PAD src0_sel:WORD_1 src1_sel:DWORD
	v_mul_f16_e32 v43, 0xbbf1, v31
	v_pk_add_f16 v12, v12, v37
	v_mul_f16_sdwa v44, v31, v10 dst_sel:DWORD dst_unused:UNUSED_PAD src0_sel:WORD_1 src1_sel:DWORD
	v_mul_f16_e32 v45, 0xbb7b, v31
	v_fmamk_f16 v47, v34, 0x3b15, v32
	v_fma_f16 v32, v34, 0x3b15, -v32
	v_pk_add_f16 v12, v12, v35
	v_pk_fma_f16 v48, 0x3b15388b, v34, v39 op_sel:[0,0,1] op_sel_hi:[1,1,0]
	v_pk_fma_f16 v49, 0x3b15388b, v34, v39 op_sel:[0,0,1] op_sel_hi:[1,1,0] neg_lo:[0,0,1] neg_hi:[0,0,1]
	v_fmamk_f16 v50, v34, 0x2fb7, v42
	v_fma_f16 v51, v40, 0x2fb7, -v43
	v_pk_add_f16 v12, v12, v11
	v_fmamk_f16 v52, v34, 0xb5ac, v44
	v_fma_f16 v53, v40, 0xb5ac, -v45
	v_add_f16_e32 v54, v32, v26
	v_bfi_b32 v32, 0xffff, v48, v49
	v_pk_add_f16 v12, v12, v30
	v_pk_add_f16 v55, v48, v26
	v_add_f16_e32 v48, v50, v26
	v_add_f16_sdwa v50, v51, v26 dst_sel:DWORD dst_unused:UNUSED_PAD src0_sel:DWORD src1_sel:WORD_1
	v_add_f16_e32 v51, v52, v26
	v_pk_add_f16 v12, v12, v36
	v_add_f16_sdwa v52, v53, v26 dst_sel:DWORD dst_unused:UNUSED_PAD src0_sel:DWORD src1_sel:WORD_1
	v_pk_add_f16 v53, v32, v26
	v_pk_add_f16 v57, v28, v33 neg_lo:[0,1] neg_hi:[0,1]
	v_mul_f16_e32 v41, 0xba95, v31
	v_pk_add_f16 v12, v12, v38
	v_pk_add_f16 v59, v28, v33
	v_fmac_f16_e32 v43, 0x2fb7, v40
	v_fmac_f16_e32 v45, 0xb5ac, v40
	v_fma_f16 v39, v40, 0x388b, -v41
	v_pk_add_f16 v12, v12, v29
	v_fmac_f16_e32 v41, 0x388b, v40
	v_add_f16_e32 v47, v47, v26
	v_mov_b32_e32 v9, 0xb94e
	v_fma_f16 v42, v34, 0x2fb7, -v42
	v_pk_add_f16 v12, v12, v33
	v_pk_mul_f16 v33, 0xbb7bba95, v57
	v_add_f16_sdwa v39, v39, v26 dst_sel:DWORD dst_unused:UNUSED_PAD src0_sel:DWORD src1_sel:WORD_1
	v_add_f16_sdwa v41, v41, v26 dst_sel:DWORD dst_unused:UNUSED_PAD src0_sel:DWORD src1_sel:WORD_1
	v_mul_f16_e32 v63, 0xb3a8, v57
	v_pk_add_f16 v32, v12, v13
	v_mul_f16_e32 v12, 0xb94e, v31
	v_mov_b32_e32 v13, 0xba95
	v_pk_fma_f16 v60, 0x388bb5ac, v59, v33 op_sel:[0,0,1] op_sel_hi:[1,1,0]
	v_pk_fma_f16 v61, 0x388bb5ac, v59, v33 op_sel:[0,0,1] op_sel_hi:[1,1,0] neg_lo:[0,0,1] neg_hi:[0,0,1]
	v_mul_f16_e32 v33, 0xbb7b, v57
	v_fma_f16 v58, v40, 0xb9fd, -v12
	v_mul_f16_sdwa v28, v57, v13 dst_sel:DWORD dst_unused:UNUSED_PAD src0_sel:WORD_1 src1_sel:DWORD
	v_fmac_f16_e32 v12, 0xb9fd, v40
	v_pk_add_f16 v55, v60, v55
	v_mul_f16_sdwa v46, v31, v9 dst_sel:DWORD dst_unused:UNUSED_PAD src0_sel:WORD_1 src1_sel:DWORD
	v_fma_f16 v44, v34, 0xb5ac, -v44
	v_fmamk_f16 v40, v59, 0x388b, v28
	v_fma_f16 v28, v59, 0x388b, -v28
	v_add_f16_sdwa v62, v12, v26 dst_sel:DWORD dst_unused:UNUSED_PAD src0_sel:DWORD src1_sel:WORD_1
	v_mov_b32_e32 v12, 0xb3a8
	v_add_f16_e32 v42, v42, v26
	v_add_f16_e32 v40, v40, v47
	;; [unrolled: 1-line block ×3, first 2 shown]
	v_bfi_b32 v28, 0xffff, v60, v61
	v_lshrrev_b32_e32 v54, 16, v59
	v_mul_f16_sdwa v60, v57, v12 dst_sel:DWORD dst_unused:UNUSED_PAD src0_sel:WORD_1 src1_sel:DWORD
	v_add_f16_sdwa v43, v43, v26 dst_sel:DWORD dst_unused:UNUSED_PAD src0_sel:DWORD src1_sel:WORD_1
	v_add_f16_e32 v44, v44, v26
	v_pk_add_f16 v53, v28, v53
	v_fma_f16 v64, v54, 0xb5ac, -v33
	v_fmac_f16_e32 v33, 0xb5ac, v54
	v_fmamk_f16 v65, v59, 0xbbc4, v60
	v_mov_b32_e32 v28, 0x394e
	v_fma_f16 v66, v54, 0xbbc4, -v63
	v_add_f16_e32 v39, v64, v39
	v_add_f16_e32 v41, v33, v41
	v_add_f16_e32 v48, v65, v48
	v_mul_f16_sdwa v64, v57, v28 dst_sel:DWORD dst_unused:UNUSED_PAD src0_sel:WORD_1 src1_sel:DWORD
	v_fma_f16 v60, v59, 0xbbc4, -v60
	v_mul_f16_e32 v65, 0x394e, v57
	v_fmac_f16_e32 v63, 0xbbc4, v54
	v_mov_b32_e32 v33, 0x3bf1
	v_fmamk_f16 v56, v34, 0xb9fd, v46
	v_add_f16_e32 v50, v66, v50
	v_fmamk_f16 v66, v59, 0xb9fd, v64
	v_add_f16_e32 v42, v60, v42
	v_fma_f16 v60, v54, 0xb9fd, -v65
	v_add_f16_e32 v43, v63, v43
	v_mul_f16_sdwa v63, v57, v33 dst_sel:DWORD dst_unused:UNUSED_PAD src0_sel:WORD_1 src1_sel:DWORD
	v_fma_f16 v64, v59, 0xb9fd, -v64
	v_add_f16_sdwa v45, v45, v26 dst_sel:DWORD dst_unused:UNUSED_PAD src0_sel:DWORD src1_sel:WORD_1
	v_add_f16_e32 v56, v56, v26
	v_fma_f16 v46, v34, 0xb9fd, -v46
	v_add_f16_e32 v51, v66, v51
	v_add_f16_e32 v52, v60, v52
	v_fmac_f16_e32 v65, 0xb9fd, v54
	v_fmamk_f16 v60, v59, 0x2fb7, v63
	v_mul_f16_e32 v66, 0x3bf1, v57
	v_add_f16_e32 v44, v64, v44
	v_pk_add_f16 v64, v27, v29 neg_lo:[0,1] neg_hi:[0,1]
	v_add_f16_sdwa v58, v58, v26 dst_sel:DWORD dst_unused:UNUSED_PAD src0_sel:DWORD src1_sel:WORD_1
	v_add_f16_e32 v46, v46, v26
	v_add_f16_e32 v45, v65, v45
	;; [unrolled: 1-line block ×3, first 2 shown]
	v_fma_f16 v60, v54, 0x2fb7, -v66
	v_pk_add_f16 v65, v27, v29
	v_mul_f16_sdwa v27, v64, v8 dst_sel:DWORD dst_unused:UNUSED_PAD src0_sel:WORD_1 src1_sel:DWORD
	v_fma_f16 v29, v59, 0x2fb7, -v63
	v_pk_mul_f16 v63, 0xb3a8bbf1, v64
	v_add_f16_e32 v58, v60, v58
	v_fmac_f16_e32 v66, 0x2fb7, v54
	v_fmamk_f16 v54, v65, 0x2fb7, v27
	v_add_f16_e32 v46, v29, v46
	v_pk_fma_f16 v29, 0x2fb7bbc4, v65, v63 op_sel:[0,0,1] op_sel_hi:[1,1,0]
	v_pk_fma_f16 v60, 0x2fb7bbc4, v65, v63 op_sel:[0,0,1] op_sel_hi:[1,1,0] neg_lo:[0,0,1] neg_hi:[0,0,1]
	v_add_f16_e32 v62, v66, v62
	v_add_f16_e32 v40, v54, v40
	v_fma_f16 v54, v65, 0x2fb7, -v27
	v_mov_b32_e32 v27, 0x3b7b
	v_bfi_b32 v63, 0xffff, v29, v60
	v_lshrrev_b32_e32 v66, 16, v65
	v_mul_f16_e32 v67, 0xb3a8, v64
	v_add_f16_e32 v47, v54, v47
	v_mul_f16_sdwa v54, v64, v27 dst_sel:DWORD dst_unused:UNUSED_PAD src0_sel:WORD_1 src1_sel:DWORD
	v_pk_add_f16 v55, v29, v55
	v_pk_add_f16 v53, v63, v53
	v_fma_f16 v63, v66, 0xbbc4, -v67
	v_mov_b32_e32 v29, 0x3770
	v_fmac_f16_e32 v67, 0xbbc4, v66
	v_fmamk_f16 v68, v65, 0xb5ac, v54
	v_mul_f16_e32 v69, 0x3b7b, v64
	v_add_f16_e32 v39, v63, v39
	v_mul_f16_sdwa v63, v64, v29 dst_sel:DWORD dst_unused:UNUSED_PAD src0_sel:WORD_1 src1_sel:DWORD
	v_fma_f16 v54, v65, 0xb5ac, -v54
	v_add_f16_e32 v41, v67, v41
	v_add_f16_e32 v48, v68, v48
	v_fma_f16 v67, v66, 0xb5ac, -v69
	v_mul_f16_e32 v68, 0x3770, v64
	v_add_f16_e32 v42, v54, v42
	v_fma_f16 v54, v65, 0x3b15, -v63
	v_fmac_f16_e32 v69, 0xb5ac, v66
	v_add_f16_e32 v50, v67, v50
	v_fma_f16 v67, v66, 0x3b15, -v68
	v_fmamk_f16 v70, v65, 0x3b15, v63
	v_add_f16_e32 v44, v54, v44
	v_pk_add_f16 v54, v37, v38 neg_lo:[0,1] neg_hi:[0,1]
	v_mul_f16_sdwa v63, v64, v13 dst_sel:DWORD dst_unused:UNUSED_PAD src0_sel:WORD_1 src1_sel:DWORD
	v_add_f16_e32 v52, v67, v52
	v_mul_f16_e32 v67, 0xba95, v64
	v_fmac_f16_e32 v68, 0x3b15, v66
	v_pk_add_f16 v37, v37, v38
	v_mul_f16_sdwa v38, v54, v10 dst_sel:DWORD dst_unused:UNUSED_PAD src0_sel:WORD_1 src1_sel:DWORD
	v_add_f16_e32 v43, v69, v43
	v_add_f16_e32 v51, v70, v51
	v_fmamk_f16 v69, v65, 0x388b, v63
	v_fma_f16 v70, v66, 0x388b, -v67
	v_add_f16_e32 v45, v68, v45
	v_fma_f16 v63, v65, 0x388b, -v63
	v_fmac_f16_e32 v67, 0x388b, v66
	v_fmamk_f16 v66, v37, 0xb5ac, v38
	v_pk_mul_f16 v68, 0x394ebb7b, v54
	v_fma_f16 v38, v37, 0xb5ac, -v38
	v_add_f16_e32 v46, v63, v46
	v_add_f16_e32 v62, v67, v62
	;; [unrolled: 1-line block ×3, first 2 shown]
	v_pk_fma_f16 v63, 0xb5acb9fd, v37, v68 op_sel:[0,0,1] op_sel_hi:[1,1,0]
	v_add_f16_e32 v38, v38, v47
	v_pk_fma_f16 v47, 0xb5acb9fd, v37, v68 op_sel:[0,0,1] op_sel_hi:[1,1,0] neg_lo:[0,0,1] neg_hi:[0,0,1]
	v_lshrrev_b32_e32 v66, 16, v37
	v_mul_f16_e32 v67, 0x394e, v54
	v_add_f16_e32 v56, v69, v56
	v_add_f16_e32 v58, v70, v58
	v_pk_add_f16 v55, v63, v55
	v_mul_f16_sdwa v68, v54, v29 dst_sel:DWORD dst_unused:UNUSED_PAD src0_sel:WORD_1 src1_sel:DWORD
	v_mul_f16_e32 v69, 0x3770, v54
	v_bfi_b32 v63, 0xffff, v63, v47
	v_fma_f16 v70, v66, 0xb9fd, -v67
	v_fmac_f16_e32 v67, 0xb9fd, v66
	v_fmamk_f16 v71, v37, 0x3b15, v68
	v_fma_f16 v72, v66, 0x3b15, -v69
	v_pk_add_f16 v53, v63, v53
	v_add_f16_e32 v63, v70, v39
	v_add_f16_e32 v41, v67, v41
	v_mul_f16_sdwa v67, v54, v8 dst_sel:DWORD dst_unused:UNUSED_PAD src0_sel:WORD_1 src1_sel:DWORD
	v_fma_f16 v68, v37, 0x3b15, -v68
	v_fmac_f16_e32 v69, 0x3b15, v66
	v_mul_f16_e32 v70, 0xbbf1, v54
	v_mov_b32_e32 v39, 0x33a8
	v_add_f16_e32 v48, v71, v48
	v_fmamk_f16 v71, v37, 0x2fb7, v67
	v_add_f16_e32 v42, v68, v42
	v_add_f16_e32 v43, v69, v43
	v_fma_f16 v68, v66, 0x2fb7, -v70
	v_mul_f16_sdwa v69, v54, v39 dst_sel:DWORD dst_unused:UNUSED_PAD src0_sel:WORD_1 src1_sel:DWORD
	v_fma_f16 v67, v37, 0x2fb7, -v67
	v_add_f16_e32 v51, v71, v51
	v_fmac_f16_e32 v70, 0x2fb7, v66
	v_add_f16_e32 v52, v68, v52
	v_fmamk_f16 v68, v37, 0xbbc4, v69
	v_mul_f16_e32 v71, 0x33a8, v54
	v_add_f16_e32 v44, v67, v44
	v_pk_add_f16 v67, v35, v36 neg_lo:[0,1] neg_hi:[0,1]
	v_add_f16_e32 v45, v70, v45
	v_add_f16_e32 v56, v68, v56
	v_fma_f16 v68, v66, 0xbbc4, -v71
	v_fma_f16 v69, v37, 0xbbc4, -v69
	v_pk_add_f16 v35, v35, v36
	v_pk_mul_f16 v70, 0x3bf1b94e, v67
	v_mul_f16_sdwa v36, v67, v9 dst_sel:DWORD dst_unused:UNUSED_PAD src0_sel:WORD_1 src1_sel:DWORD
	v_add_f16_e32 v58, v68, v58
	v_add_f16_e32 v46, v69, v46
	v_fmac_f16_e32 v71, 0xbbc4, v66
	v_pk_fma_f16 v68, 0xb9fd2fb7, v35, v70 op_sel:[0,0,1] op_sel_hi:[1,1,0]
	v_pk_fma_f16 v69, 0xb9fd2fb7, v35, v70 op_sel:[0,0,1] op_sel_hi:[1,1,0] neg_lo:[0,0,1] neg_hi:[0,0,1]
	v_add_f16_e32 v50, v72, v50
	v_fmamk_f16 v66, v35, 0xb9fd, v36
	v_lshrrev_b32_e32 v70, 16, v35
	v_mul_f16_e32 v72, 0x3bf1, v67
	v_add_f16_e32 v62, v71, v62
	v_mul_f16_sdwa v71, v67, v13 dst_sel:DWORD dst_unused:UNUSED_PAD src0_sel:WORD_1 src1_sel:DWORD
	v_bfi_b32 v73, 0xffff, v68, v69
	v_add_f16_e32 v40, v66, v40
	v_fma_f16 v66, v70, 0x2fb7, -v72
	v_fmac_f16_e32 v72, 0x2fb7, v70
	v_fmamk_f16 v74, v35, 0x388b, v71
	v_pk_add_f16 v53, v73, v53
	v_mul_f16_e32 v73, 0xba95, v67
	v_fma_f16 v71, v35, 0x388b, -v71
	v_add_f16_e32 v41, v72, v41
	v_add_f16_e32 v48, v74, v48
	v_mul_f16_e32 v74, 0x33a8, v67
	v_fma_f16 v72, v70, 0x388b, -v73
	v_add_f16_e32 v63, v66, v63
	v_mul_f16_sdwa v66, v67, v39 dst_sel:DWORD dst_unused:UNUSED_PAD src0_sel:WORD_1 src1_sel:DWORD
	v_fmac_f16_e32 v73, 0x388b, v70
	v_add_f16_e32 v42, v71, v42
	v_add_f16_e32 v50, v72, v50
	v_fma_f16 v71, v70, 0xbbc4, -v74
	v_mul_f16_sdwa v72, v67, v29 dst_sel:DWORD dst_unused:UNUSED_PAD src0_sel:WORD_1 src1_sel:DWORD
	v_fmamk_f16 v75, v35, 0xbbc4, v66
	v_add_f16_e32 v43, v73, v43
	v_fma_f16 v66, v35, 0xbbc4, -v66
	v_mul_f16_e32 v73, 0x3770, v67
	v_add_f16_e32 v52, v71, v52
	v_fmamk_f16 v71, v35, 0x3b15, v72
	v_add_f16_e32 v49, v49, v26
	v_add_f16_e32 v44, v66, v44
	v_fma_f16 v66, v70, 0x3b15, -v73
	v_fmac_f16_e32 v74, 0xbbc4, v70
	v_add_f16_e32 v56, v71, v56
	v_pk_add_f16 v71, v11, v30
	v_pk_add_f16 v30, v11, v30 neg_lo:[0,1] neg_hi:[0,1]
	v_fma_f16 v11, v35, 0x3b15, -v72
	v_add_f16_e32 v58, v66, v58
	v_fmac_f16_e32 v73, 0x3b15, v70
	v_mul_f16_e32 v66, 0xbbc4, v71
	v_lshrrev_b32_e32 v72, 16, v30
	v_add_f16_e32 v46, v11, v46
	v_add_f16_e32 v11, v61, v49
	v_add_f16_e32 v45, v74, v45
	v_pk_mul_f16 v70, 0x3770b3a8, v30
	v_add_f16_e32 v62, v73, v62
	v_fmamk_f16 v73, v72, 0xb3a8, v66
	v_lshrrev_b32_e32 v74, 16, v71
	v_mul_f16_e32 v76, 0x3770, v30
	v_add_f16_e32 v60, v60, v11
	v_pk_fma_f16 v49, 0xbbc43b15, v71, v70 op_sel:[0,0,1] op_sel_hi:[1,1,0] neg_lo:[0,0,1] neg_hi:[0,0,1]
	v_pk_fma_f16 v61, 0xbbc43b15, v71, v70 op_sel:[0,0,1] op_sel_hi:[1,1,0]
	v_add_f16_e32 v40, v73, v40
	v_fma_f16 v73, v74, 0x3b15, -v76
	v_add_f16_e32 v47, v47, v60
	v_mul_f16_e32 v60, 0xb94e, v72
	v_add_f16_e32 v51, v75, v51
	v_mul_u32_u24_e32 v75, 52, v3
	v_bfi_b32 v61, 0xffff, v61, v49
	v_lshlrev_b32_e32 v11, 2, v0
	v_add_f16_e32 v63, v73, v63
	v_add_f16_e32 v47, v69, v47
	v_fmamk_f16 v69, v71, 0xb9fd, v60
	v_mul_f16_e32 v73, 0xb94e, v30
	v_pk_add_f16 v53, v61, v53
	v_add3_u32 v61, 0, v75, v11
	v_add_f16_e32 v47, v49, v47
	v_add_f16_e32 v48, v69, v48
	v_fma_f16 v49, v74, 0xb9fd, -v73
	v_fma_f16 v60, v71, 0xb9fd, -v60
	v_mul_f16_e32 v69, 0x3a95, v72
	v_fmac_f16_e32 v73, 0xb9fd, v74
	v_mul_f16_e32 v75, 0x3a95, v30
	v_add_f16_e32 v49, v49, v50
	v_add_f16_e32 v42, v60, v42
	v_fmamk_f16 v50, v71, 0x388b, v69
	v_add_f16_e32 v43, v73, v43
	v_fma_f16 v60, v74, 0x388b, -v75
	v_mul_f16_e32 v73, 0xb3a8, v72
	v_mul_f16_e32 v72, 0xbb7b, v72
	v_add_f16_e32 v50, v50, v51
	v_fma_f16 v51, v71, 0x388b, -v69
	v_add_f16_e32 v52, v60, v52
	v_mul_f16_e32 v69, 0xbb7b, v30
	v_fmamk_f16 v60, v71, 0xb5ac, v72
	v_pk_mul_f16 v34, 0xbbc4, v34 op_sel_hi:[0,1]
	v_bfi_b32 v40, 0xffff, v40, v53
	v_pack_b32_f16 v53, v53, v63
	v_pack_b32_f16 v50, v50, v52
	v_add_f16_e32 v56, v60, v56
	v_fma_f16 v60, v74, 0xb5ac, -v69
	v_pack_b32_f16 v48, v48, v49
	ds_write2_b32 v61, v40, v53 offset0:1 offset1:2
	v_pk_mul_f16 v40, 0x3b15, v59 op_sel_hi:[0,1]
	v_pk_mul_f16 v52, 0xb9fd, v65 op_sel_hi:[0,1]
	v_add_f16_e32 v58, v60, v58
	v_pk_fma_f16 v60, 0xb3a8, v31, v34 op_sel:[0,0,1] op_sel_hi:[0,1,0]
	v_pk_fma_f16 v31, 0xb3a8, v31, v34 op_sel:[0,0,1] op_sel_hi:[0,1,0] neg_lo:[0,1,0] neg_hi:[0,1,0]
	v_pk_fma_f16 v34, 0x3770, v57, v40 op_sel:[0,0,1] op_sel_hi:[0,1,0]
	v_pk_fma_f16 v40, 0x3770, v57, v40 op_sel:[0,0,1] op_sel_hi:[0,1,0] neg_lo:[0,1,0] neg_hi:[0,1,0]
	v_pk_fma_f16 v57, 0xb94e, v64, v52 op_sel:[0,0,1] op_sel_hi:[0,1,0]
	v_alignbit_b32 v53, s0, v60, 16
	v_pk_mul_f16 v37, 0x388b, v37 op_sel_hi:[0,1]
	v_fma_f16 v36, v35, 0xb9fd, -v36
	v_pk_mul_f16 v35, 0xb5ac, v35 op_sel_hi:[0,1]
	v_add_f16_e32 v44, v51, v44
	v_pk_add_f16 v49, v53, v26
	v_alignbit_b32 v53, s0, v26, 16
	v_pk_add_f16 v26, v31, v26 op_sel:[0,1] op_sel_hi:[1,0]
	v_alignbit_b32 v31, s0, v34, 16
	v_pk_mul_f16 v51, 0xbbc43b15, v71
	v_fmac_f16_e32 v75, 0x388b, v74
	v_pk_add_f16 v53, v60, v53
	v_pk_add_f16 v26, v40, v26
	;; [unrolled: 1-line block ×3, first 2 shown]
	v_alignbit_b32 v40, s0, v57, 16
	v_pk_fma_f16 v49, 0xb94e, v64, v52 op_sel:[0,0,1] op_sel_hi:[0,1,0] neg_lo:[0,1,0] neg_hi:[0,1,0]
	v_pk_fma_f16 v52, 0x3a95, v54, v37 op_sel:[0,0,1] op_sel_hi:[0,1,0]
	v_pk_add_f16 v34, v34, v53
	v_pk_fma_f16 v37, 0x3a95, v54, v37 op_sel:[0,0,1] op_sel_hi:[0,1,0] neg_lo:[0,1,0] neg_hi:[0,1,0]
	v_pk_add_f16 v31, v40, v31
	v_pk_add_f16 v26, v49, v26
	v_alignbit_b32 v40, s0, v52, 16
	v_pk_fma_f16 v49, 0xbb7b, v67, v35 op_sel:[0,0,1] op_sel_hi:[0,1,0]
	v_pk_add_f16 v34, v57, v34
	v_pk_mul_f16 v53, 0x2fb7, v71 op_sel_hi:[0,1]
	v_pk_add_f16 v26, v37, v26
	v_pk_add_f16 v31, v40, v31
	v_alignbit_b32 v37, s0, v49, 16
	v_pk_fma_f16 v35, 0xbb7b, v67, v35 op_sel:[0,0,1] op_sel_hi:[0,1,0] neg_lo:[0,1,0] neg_hi:[0,1,0]
	v_pk_fma_f16 v40, 0x3bf1, v30, v53 op_sel:[0,0,1] op_sel_hi:[0,1,0]
	v_pk_add_f16 v34, v52, v34
	v_pk_fma_f16 v30, 0x3bf1, v30, v53 op_sel:[0,0,1] op_sel_hi:[0,1,0] neg_lo:[0,1,0] neg_hi:[0,1,0]
	v_pk_add_f16 v31, v37, v31
	v_pk_add_f16 v26, v35, v26
	v_alignbit_b32 v35, s0, v40, 16
	v_pk_add_f16 v34, v49, v34
	v_bfi_b32 v37, 0xffff, v73, v55
	v_fma_f16 v72, v71, 0xb5ac, -v72
	v_fmac_f16_e32 v69, 0xb5ac, v74
	v_fmac_f16_e32 v76, 0x3b15, v74
	ds_write2_b32 v61, v48, v50 offset0:3 offset1:4
	v_pack_b32_f16 v48, v56, v58
	v_pk_add_f16 v31, v35, v31
	v_pk_add_f16 v26, v30, v26
	v_pk_add_f16 v30, v40, v34
	v_pk_add_f16 v34, v66, v37 neg_lo:[0,1] neg_hi:[0,1]
	v_pk_add_f16 v35, v68, v55
	v_bfi_b32 v36, 0xffff, v36, v51
	v_pack_b32_f16 v37, v38, v70
	v_add_f16_e32 v45, v75, v45
	v_add_f16_e32 v46, v72, v46
	;; [unrolled: 1-line block ×4, first 2 shown]
	ds_write2_b32 v61, v32, v48 offset1:5
	v_alignbit_b32 v30, v30, v26, 16
	v_pack_b32_f16 v26, v31, v26
	v_bfi_b32 v31, 0xffff, v34, v35
	v_pk_add_f16 v32, v36, v37
	v_pack_b32_f16 v34, v44, v45
	v_pack_b32_f16 v35, v46, v62
	v_pack_b32_f16 v36, v47, v41
	v_pack_b32_f16 v37, v42, v43
	v_pk_add_f16 v31, v31, v32
	s_mov_b32 s1, exec_lo
	ds_write2_b32 v61, v26, v30 offset0:6 offset1:7
	ds_write2_b32 v61, v35, v34 offset0:8 offset1:9
	;; [unrolled: 1-line block ×3, first 2 shown]
	ds_write_b32 v61, v31 offset:48
	v_cmpx_eq_u32_e32 0, v3
	s_cbranch_execz .LBB0_17
; %bb.16:
	v_pk_add_f16 v26, v4, v25
	v_pk_add_f16 v37, v24, v15
	v_pk_add_f16 v30, v24, v15 neg_lo:[0,1] neg_hi:[0,1]
	v_pk_add_f16 v38, v25, v14
	v_pk_add_f16 v31, v25, v14 neg_lo:[0,1] neg_hi:[0,1]
	v_pk_add_f16 v24, v26, v24
	v_pk_add_f16 v35, v22, v17
	v_pk_add_f16 v25, v22, v17 neg_lo:[0,1] neg_hi:[0,1]
	v_pk_add_f16 v32, v21, v18
	v_pk_add_f16 v36, v23, v16
	;; [unrolled: 1-line block ×3, first 2 shown]
	v_pk_add_f16 v24, v21, v18 neg_lo:[0,1] neg_hi:[0,1]
	v_pk_add_f16 v26, v23, v16 neg_lo:[0,1] neg_hi:[0,1]
	v_pk_add_f16 v34, v20, v19
	v_pk_add_f16 v23, v20, v19 neg_lo:[0,1] neg_hi:[0,1]
	v_pk_add_f16 v22, v40, v22
	v_lshrrev_b32_e32 v40, 16, v38
	v_mul_f16_e32 v41, 0xb94e, v31
	v_lshrrev_b32_e32 v42, 16, v37
	v_mul_f16_e32 v43, 0x3bf1, v30
	v_pk_add_f16 v21, v22, v21
	v_lshrrev_b32_e32 v22, 16, v36
	v_fma_f16 v49, v40, 0xb9fd, -v41
	v_mul_f16_e32 v44, 0xba95, v26
	v_fma_f16 v51, v42, 0x2fb7, -v43
	v_pk_add_f16 v20, v21, v20
	v_lshrrev_b32_e32 v45, 16, v35
	v_add_f16_sdwa v49, v4, v49 dst_sel:DWORD dst_unused:UNUSED_PAD src0_sel:WORD_1 src1_sel:DWORD
	v_mul_f16_e32 v46, 0x33a8, v25
	v_mul_f16_sdwa v50, v31, v9 dst_sel:DWORD dst_unused:UNUSED_PAD src0_sel:WORD_1 src1_sel:DWORD
	v_pk_add_f16 v19, v20, v19
	v_fma_f16 v52, v22, 0x388b, -v44
	v_add_f16_e32 v49, v49, v51
	v_lshrrev_b32_e32 v21, 16, v32
	v_mul_f16_e32 v47, 0x3770, v24
	v_pk_add_f16 v18, v18, v19
	v_mul_f16_sdwa v19, v30, v33 dst_sel:DWORD dst_unused:UNUSED_PAD src0_sel:WORD_1 src1_sel:DWORD
	v_fmamk_f16 v51, v38, 0xb9fd, v50
	v_fma_f16 v53, v45, 0xbbc4, -v46
	v_add_f16_e32 v49, v49, v52
	v_pk_add_f16 v17, v17, v18
	v_lshrrev_b32_e32 v48, 16, v34
	v_mul_f16_e32 v20, 0xbb7b, v23
	v_mul_f16_sdwa v33, v26, v13 dst_sel:DWORD dst_unused:UNUSED_PAD src0_sel:WORD_1 src1_sel:DWORD
	v_add_f16_e32 v51, v4, v51
	v_pk_add_f16 v16, v16, v17
	v_fmamk_f16 v17, v37, 0x2fb7, v19
	v_fma_f16 v52, v21, 0x3b15, -v47
	v_add_f16_e32 v49, v49, v53
	v_mul_f16_sdwa v18, v25, v39 dst_sel:DWORD dst_unused:UNUSED_PAD src0_sel:WORD_1 src1_sel:DWORD
	v_pk_add_f16 v15, v15, v16
	v_fmamk_f16 v16, v36, 0x388b, v33
	v_add_f16_e32 v17, v51, v17
	v_fma_f16 v51, v48, 0xb5ac, -v20
	v_add_f16_e32 v49, v49, v52
	v_pk_add_f16 v14, v14, v15
	v_mul_f16_e32 v15, 0xbb7b, v31
	v_add_f16_e32 v16, v17, v16
	v_fmamk_f16 v17, v35, 0xbbc4, v18
	v_mul_f16_sdwa v52, v24, v29 dst_sel:DWORD dst_unused:UNUSED_PAD src0_sel:WORD_1 src1_sel:DWORD
	v_add_f16_e32 v49, v49, v51
	v_fma_f16 v51, v40, 0xb5ac, -v15
	v_mul_f16_e32 v53, 0x394e, v30
	v_add_f16_e32 v16, v16, v17
	v_fmamk_f16 v17, v32, 0x3b15, v52
	v_mul_f16_sdwa v54, v23, v10 dst_sel:DWORD dst_unused:UNUSED_PAD src0_sel:WORD_1 src1_sel:DWORD
	v_add_f16_sdwa v51, v4, v51 dst_sel:DWORD dst_unused:UNUSED_PAD src0_sel:WORD_1 src1_sel:DWORD
	v_fma_f16 v55, v42, 0xb9fd, -v53
	v_mul_f16_e32 v56, 0x3770, v26
	v_add_f16_e32 v16, v16, v17
	v_fmamk_f16 v17, v34, 0xb5ac, v54
	v_mul_f16_sdwa v57, v31, v10 dst_sel:DWORD dst_unused:UNUSED_PAD src0_sel:WORD_1 src1_sel:DWORD
	v_add_f16_e32 v51, v51, v55
	v_fma_f16 v55, v22, 0x3b15, -v56
	v_mul_f16_e32 v58, 0xbbf1, v25
	v_add_f16_e32 v16, v16, v17
	v_fmamk_f16 v17, v38, 0xb5ac, v57
	v_mul_f16_sdwa v28, v30, v28 dst_sel:DWORD dst_unused:UNUSED_PAD src0_sel:WORD_1 src1_sel:DWORD
	v_add_f16_e32 v51, v51, v55
	;; [unrolled: 6-line block ×4, first 2 shown]
	v_mul_f16_e32 v55, 0xbbf1, v31
	v_fma_f16 v64, v48, 0x388b, -v62
	v_add_f16_e32 v17, v17, v60
	v_fmamk_f16 v60, v35, 0x2fb7, v63
	v_mul_f16_sdwa v39, v24, v39 dst_sel:DWORD dst_unused:UNUSED_PAD src0_sel:WORD_1 src1_sel:DWORD
	v_fma_f16 v65, v40, 0x2fb7, -v55
	v_mul_f16_e32 v66, 0xb3a8, v30
	v_add_f16_e32 v51, v51, v64
	v_add_f16_e32 v17, v17, v60
	v_fmamk_f16 v60, v32, 0xbbc4, v39
	v_add_f16_sdwa v64, v4, v65 dst_sel:DWORD dst_unused:UNUSED_PAD src0_sel:WORD_1 src1_sel:DWORD
	v_fma_f16 v65, v42, 0xbbc4, -v66
	v_mul_f16_e32 v67, 0x3b7b, v26
	v_mul_f16_e32 v69, 0x3770, v25
	v_add_f16_e32 v17, v17, v60
	v_mul_f16_sdwa v60, v31, v8 dst_sel:DWORD dst_unused:UNUSED_PAD src0_sel:WORD_1 src1_sel:DWORD
	v_add_f16_e32 v64, v64, v65
	v_fma_f16 v65, v22, 0xb5ac, -v67
	v_mov_b32_e32 v68, 0x3a95
	v_mul_f16_sdwa v71, v30, v12 dst_sel:DWORD dst_unused:UNUSED_PAD src0_sel:WORD_1 src1_sel:DWORD
	v_fmamk_f16 v70, v38, 0x2fb7, v60
	v_mul_f16_e32 v72, 0xba95, v24
	v_add_f16_e32 v64, v64, v65
	v_fma_f16 v65, v45, 0x3b15, -v69
	v_mul_f16_sdwa v68, v23, v68 dst_sel:DWORD dst_unused:UNUSED_PAD src0_sel:WORD_1 src1_sel:DWORD
	v_add_f16_e32 v70, v4, v70
	v_fmamk_f16 v73, v37, 0xbbc4, v71
	v_mul_f16_sdwa v27, v26, v27 dst_sel:DWORD dst_unused:UNUSED_PAD src0_sel:WORD_1 src1_sel:DWORD
	v_add_f16_e32 v64, v64, v65
	v_fma_f16 v65, v21, 0x388b, -v72
	v_fmamk_f16 v74, v34, 0x388b, v68
	v_add_f16_e32 v70, v70, v73
	v_fmamk_f16 v73, v36, 0xb5ac, v27
	v_mul_f16_sdwa v29, v25, v29 dst_sel:DWORD dst_unused:UNUSED_PAD src0_sel:WORD_1 src1_sel:DWORD
	v_add_f16_e32 v64, v64, v65
	v_mul_f16_e32 v65, 0xba95, v31
	v_add_f16_e32 v17, v17, v74
	v_add_f16_e32 v70, v70, v73
	v_fmamk_f16 v73, v35, 0x3b15, v29
	v_mul_f16_sdwa v74, v24, v13 dst_sel:DWORD dst_unused:UNUSED_PAD src0_sel:WORD_1 src1_sel:DWORD
	v_fma_f16 v76, v40, 0x388b, -v65
	v_mul_f16_e32 v77, 0xbb7b, v30
	v_mul_f16_e32 v80, 0xb3a8, v26
	v_add_f16_e32 v70, v70, v73
	v_fmamk_f16 v73, v32, 0x388b, v74
	v_add_f16_sdwa v76, v4, v76 dst_sel:DWORD dst_unused:UNUSED_PAD src0_sel:WORD_1 src1_sel:DWORD
	v_fma_f16 v79, v42, 0xb5ac, -v77
	v_fmac_f16_e32 v41, 0xb9fd, v40
	v_mul_f16_e32 v75, 0xb94e, v23
	v_add_f16_e32 v70, v70, v73
	v_pk_mul_f16 v82, 0x3b15388b, v38
	v_add_f16_e32 v73, v76, v79
	v_fma_f16 v76, v22, 0xbbc4, -v80
	v_mul_f16_e32 v79, 0x394e, v25
	v_mul_f16_e32 v89, 0x3bf1, v24
	v_add_f16_sdwa v41, v4, v41 dst_sel:DWORD dst_unused:UNUSED_PAD src0_sel:WORD_1 src1_sel:DWORD
	v_fmac_f16_e32 v43, 0x2fb7, v42
	v_add_f16_e32 v73, v73, v76
	v_fma_f16 v76, v45, 0xb9fd, -v79
	v_fma_f16 v81, v48, 0xb9fd, -v75
	v_pk_fma_f16 v83, 0xba95b770, v31, v82 op_sel:[0,0,1] op_sel_hi:[1,1,0] neg_lo:[0,1,0] neg_hi:[0,1,0]
	v_pk_mul_f16 v84, 0x388bb5ac, v37
	v_pk_fma_f16 v82, 0xba95b770, v31, v82 op_sel:[0,0,1] op_sel_hi:[1,1,0]
	v_add_f16_e32 v73, v73, v76
	v_fma_f16 v92, v21, 0x2fb7, -v89
	v_mul_f16_e32 v93, 0x3770, v23
	v_add_f16_e32 v41, v41, v43
	v_fmac_f16_e32 v44, 0x388b, v22
	v_pk_fma_f16 v86, 0xbb7bba95, v30, v84 op_sel:[0,0,1] op_sel_hi:[1,1,0] neg_lo:[0,1,0] neg_hi:[0,1,0]
	v_bfi_b32 v87, 0xffff, v83, v82
	v_pk_fma_f16 v84, 0xbb7bba95, v30, v84 op_sel:[0,0,1] op_sel_hi:[1,1,0]
	v_pk_mul_f16 v88, 0x2fb7bbc4, v36
	v_add_f16_e32 v64, v64, v81
	v_add_f16_e32 v73, v73, v92
	v_fma_f16 v81, v48, 0x3b15, -v93
	v_mul_f16_sdwa v7, v31, v7 dst_sel:DWORD dst_unused:UNUSED_PAD src0_sel:WORD_1 src1_sel:DWORD
	v_add_f16_e32 v41, v41, v44
	v_fma_f16 v44, v38, 0xb5ac, -v57
	v_mul_f16_sdwa v78, v23, v9 dst_sel:DWORD dst_unused:UNUSED_PAD src0_sel:WORD_1 src1_sel:DWORD
	v_pk_add_f16 v76, v4, v87 op_sel:[1,0] op_sel_hi:[0,1]
	v_bfi_b32 v87, 0xffff, v86, v84
	v_pk_fma_f16 v90, 0xb3a8bbf1, v26, v88 op_sel:[0,0,1] op_sel_hi:[1,1,0] neg_lo:[0,1,0] neg_hi:[0,1,0]
	v_pk_fma_f16 v88, 0xb3a8bbf1, v26, v88 op_sel:[0,0,1] op_sel_hi:[1,1,0]
	v_pk_mul_f16 v91, 0xb5acb9fd, v35
	v_add_f16_e32 v73, v73, v81
	v_fmamk_f16 v81, v38, 0x3b15, v7
	v_mul_f16_sdwa v13, v30, v13 dst_sel:DWORD dst_unused:UNUSED_PAD src0_sel:WORD_1 src1_sel:DWORD
	v_fmac_f16_e32 v46, 0xbbc4, v45
	v_fmac_f16_e32 v15, 0xb5ac, v40
	v_add_f16_e32 v44, v4, v44
	v_fma_f16 v28, v37, 0xb9fd, -v28
	v_fmamk_f16 v85, v34, 0xb9fd, v78
	v_pk_add_f16 v76, v76, v87
	v_bfi_b32 v87, 0xffff, v90, v88
	v_pk_fma_f16 v94, 0x394ebb7b, v25, v91 op_sel:[0,0,1] op_sel_hi:[1,1,0] neg_lo:[0,1,0] neg_hi:[0,1,0]
	v_pk_fma_f16 v91, 0x394ebb7b, v25, v91 op_sel:[0,0,1] op_sel_hi:[1,1,0]
	v_add_f16_e32 v81, v4, v81
	v_fmamk_f16 v95, v37, 0x388b, v13
	v_mul_f16_sdwa v8, v26, v8 dst_sel:DWORD dst_unused:UNUSED_PAD src0_sel:WORD_1 src1_sel:DWORD
	v_add_f16_e32 v41, v41, v46
	v_fmac_f16_e32 v47, 0x3b15, v21
	v_fma_f16 v46, v38, 0x2fb7, -v60
	v_add_f16_sdwa v15, v4, v15 dst_sel:DWORD dst_unused:UNUSED_PAD src0_sel:WORD_1 src1_sel:DWORD
	v_fmac_f16_e32 v53, 0xb9fd, v42
	v_add_f16_e32 v28, v44, v28
	v_fma_f16 v44, v36, 0x3b15, -v61
	v_fmac_f16_e32 v65, 0x388b, v40
	v_pk_add_f16 v76, v76, v87
	v_bfi_b32 v87, 0xffff, v94, v91
	v_add_f16_e32 v70, v70, v85
	v_pk_mul_f16 v85, 0xb9fd2fb7, v32
	v_add_f16_e32 v81, v81, v95
	v_fmamk_f16 v95, v36, 0x2fb7, v8
	v_mul_f16_sdwa v10, v25, v10 dst_sel:DWORD dst_unused:UNUSED_PAD src0_sel:WORD_1 src1_sel:DWORD
	v_add_f16_e32 v41, v41, v47
	v_fmac_f16_e32 v20, 0xb5ac, v48
	v_add_f16_e32 v46, v4, v46
	v_fma_f16 v47, v37, 0xbbc4, -v71
	v_add_f16_e32 v15, v15, v53
	v_add_f16_e32 v28, v28, v44
	v_fma_f16 v44, v35, 0x2fb7, -v63
	v_add_f16_sdwa v53, v4, v65 dst_sel:DWORD dst_unused:UNUSED_PAD src0_sel:WORD_1 src1_sel:DWORD
	v_fmac_f16_e32 v77, 0xb5ac, v42
	v_pk_add_f16 v76, v76, v87
	v_pk_fma_f16 v87, 0x3bf1b94e, v24, v85 op_sel:[0,0,1] op_sel_hi:[1,1,0] neg_lo:[0,1,0] neg_hi:[0,1,0]
	v_pk_fma_f16 v85, 0x3bf1b94e, v24, v85 op_sel:[0,0,1] op_sel_hi:[1,1,0]
	v_pk_mul_f16 v92, 0xbbc43b15, v34
	v_add_f16_e32 v81, v81, v95
	v_fmamk_f16 v95, v35, 0xb5ac, v10
	v_mul_f16_sdwa v9, v24, v9 dst_sel:DWORD dst_unused:UNUSED_PAD src0_sel:WORD_1 src1_sel:DWORD
	v_add_f16_e32 v20, v41, v20
	v_add_f16_e32 v41, v46, v47
	v_fma_f16 v27, v36, 0xb5ac, -v27
	v_add_f16_e32 v28, v28, v44
	v_add_f16_e32 v44, v53, v77
	v_fmac_f16_e32 v80, 0xbbc4, v22
	v_bfi_b32 v96, 0xffff, v87, v85
	v_pk_fma_f16 v97, 0x3770b3a8, v23, v92 op_sel:[0,0,1] op_sel_hi:[1,1,0] neg_lo:[0,1,0] neg_hi:[0,1,0]
	v_pk_fma_f16 v92, 0x3770b3a8, v23, v92 op_sel:[0,0,1] op_sel_hi:[1,1,0]
	v_add_f16_e32 v81, v81, v95
	v_fmamk_f16 v95, v32, 0xb9fd, v9
	v_mul_f16_sdwa v12, v23, v12 dst_sel:DWORD dst_unused:UNUSED_PAD src0_sel:WORD_1 src1_sel:DWORD
	v_add_f16_e32 v27, v41, v27
	v_fma_f16 v29, v35, 0x3b15, -v29
	v_add_f16_e32 v44, v44, v80
	v_fmac_f16_e32 v79, 0xb9fd, v45
	v_pk_add_f16 v76, v76, v96
	v_bfi_b32 v96, 0xffff, v97, v92
	v_add_f16_e32 v43, v81, v95
	v_fmamk_f16 v81, v34, 0xbbc4, v12
	v_mul_f16_e32 v40, 0x2fb7, v40
	v_add_f16_e32 v27, v27, v29
	v_fma_f16 v29, v32, 0x388b, -v74
	v_fma_f16 v39, v32, 0xbbc4, -v39
	v_add_f16_e32 v44, v44, v79
	v_fmac_f16_e32 v89, 0x2fb7, v21
	v_pk_add_f16 v76, v76, v96
	v_add_f16_e32 v43, v43, v81
	v_mul_f16_e32 v41, 0x3b15, v45
	v_mul_f16_e32 v46, 0x388b, v21
	v_fma_f16 v47, v38, 0xb9fd, -v50
	v_add_f16_e32 v27, v27, v29
	v_fma_f16 v29, v34, 0xb9fd, -v78
	v_pk_add_f16 v40, v40, v55
	v_fma_f16 v7, v38, 0x3b15, -v7
	v_pk_mul_f16 v38, 0xbbc4, v38 op_sel_hi:[0,1]
	v_fmac_f16_e32 v58, 0x2fb7, v45
	v_fmac_f16_e32 v59, 0xbbc4, v21
	v_mul_f16_e32 v42, 0xbbc4, v42
	v_mul_f16_e32 v45, 0xb9fd, v48
	v_add_f16_e32 v21, v28, v39
	v_fma_f16 v28, v34, 0x388b, -v68
	v_add_f16_e32 v39, v44, v89
	v_fmac_f16_e32 v93, 0x3b15, v48
	v_lshl_add_u32 v0, v0, 2, 0
	v_fma_f16 v19, v37, 0x2fb7, -v19
	v_add_f16_e32 v27, v27, v29
	v_bfi_b32 v29, 0xffff, v40, v83
	v_pk_add_f16 v40, v41, v69
	v_pk_add_f16 v41, v46, v72
	v_fma_f16 v13, v37, 0x388b, -v13
	v_alignbit_b32 v44, v73, v76, 16
	v_pack_b32_f16 v43, v43, v76
	v_pk_mul_f16 v37, 0x3b15, v37 op_sel_hi:[0,1]
	v_pk_fma_f16 v46, 0xb3a8, v31, v38 op_sel:[0,0,1] op_sel_hi:[0,1,0]
	v_pk_fma_f16 v31, 0xb3a8, v31, v38 op_sel:[0,0,1] op_sel_hi:[0,1,0] neg_lo:[0,1,0] neg_hi:[0,1,0]
	v_add_f16_e32 v21, v21, v28
	v_add_f16_e32 v28, v39, v93
	v_pk_add_f16 v39, v42, v66
	v_pk_add_f16 v42, v45, v75
	v_pack_b32_f16 v17, v17, v51
	v_pack_b32_f16 v45, v70, v64
	v_fma_f16 v33, v36, 0x388b, -v33
	v_fma_f16 v8, v36, 0x2fb7, -v8
	ds_write2_b32 v0, v43, v44 offset0:170 offset1:171
	ds_write2_b32 v0, v45, v17 offset0:172 offset1:173
	v_pk_fma_f16 v17, 0x3770, v30, v37 op_sel:[0,0,1] op_sel_hi:[0,1,0]
	v_pk_mul_f16 v36, 0xb9fd, v36 op_sel_hi:[0,1]
	v_pk_add_f16 v31, v4, v31 op_sel:[1,0] op_sel_hi:[0,1]
	v_pk_fma_f16 v30, 0x3770, v30, v37 op_sel:[0,0,1] op_sel_hi:[0,1,0] neg_lo:[0,1,0] neg_hi:[0,1,0]
	v_pack_b32_f16 v7, v82, v7
	v_fma_f16 v18, v35, 0xbbc4, -v18
	v_fma_f16 v10, v35, 0xb5ac, -v10
	v_add_f16_sdwa v43, v4, v46 dst_sel:DWORD dst_unused:UNUSED_PAD src0_sel:DWORD src1_sel:WORD_1
	v_pk_mul_f16 v35, 0x388b, v35 op_sel_hi:[0,1]
	v_pk_fma_f16 v38, 0xb94e, v26, v36 op_sel:[0,0,1] op_sel_hi:[0,1,0]
	v_pk_add_f16 v30, v31, v30
	v_pk_fma_f16 v26, 0xb94e, v26, v36 op_sel:[0,0,1] op_sel_hi:[0,1,0] neg_lo:[0,1,0] neg_hi:[0,1,0]
	v_pack_b32_f16 v44, v46, v47
	v_fmac_f16_e32 v56, 0x3b15, v22
	v_mul_f16_e32 v22, 0xb5ac, v22
	v_pk_add_f16 v7, v4, v7 op_sel:[1,0] op_sel_hi:[0,1]
	v_pack_b32_f16 v13, v84, v13
	v_add_f16_sdwa v43, v43, v17 dst_sel:DWORD dst_unused:UNUSED_PAD src0_sel:DWORD src1_sel:WORD_1
	v_pk_fma_f16 v37, 0x3a95, v25, v35 op_sel:[0,0,1] op_sel_hi:[0,1,0]
	v_pk_add_f16 v26, v30, v26
	v_pk_fma_f16 v25, 0x3a95, v25, v35 op_sel:[0,0,1] op_sel_hi:[0,1,0] neg_lo:[0,1,0] neg_hi:[0,1,0]
	v_pk_add_f16 v30, v4, v44 op_sel:[1,0] op_sel_hi:[0,1]
	v_pack_b32_f16 v17, v17, v19
	v_pk_add_f16 v22, v22, v67
	v_bfi_b32 v39, 0xffff, v39, v86
	v_pk_add_f16 v4, v4, v29 op_sel:[1,0] op_sel_hi:[0,1]
	v_pk_add_f16 v7, v7, v13
	v_pack_b32_f16 v8, v88, v8
	v_add_f16_e32 v15, v15, v56
	v_fma_f16 v50, v32, 0x3b15, -v52
	v_fma_f16 v9, v32, 0xb9fd, -v9
	v_pk_mul_f16 v32, 0xb5ac, v32 op_sel_hi:[0,1]
	v_pk_add_f16 v25, v26, v25
	v_pk_add_f16 v17, v30, v17
	v_pack_b32_f16 v26, v38, v33
	v_bfi_b32 v22, 0xffff, v22, v90
	v_pk_add_f16 v4, v4, v39
	v_pk_add_f16 v7, v7, v8
	v_pack_b32_f16 v8, v91, v10
	v_add_f16_sdwa v43, v43, v38 dst_sel:DWORD dst_unused:UNUSED_PAD src0_sel:DWORD src1_sel:WORD_1
	v_add_f16_e32 v15, v15, v58
	v_fma_f16 v52, v34, 0xb5ac, -v54
	v_fma_f16 v12, v34, 0xbbc4, -v12
	v_pk_mul_f16 v34, 0x2fb7, v34 op_sel_hi:[0,1]
	v_pk_fma_f16 v31, 0xbb7b, v24, v32 op_sel:[0,0,1] op_sel_hi:[0,1,0]
	v_pk_fma_f16 v13, 0xbb7b, v24, v32 op_sel:[0,0,1] op_sel_hi:[0,1,0] neg_lo:[0,1,0] neg_hi:[0,1,0]
	v_pk_add_f16 v17, v17, v26
	v_pack_b32_f16 v18, v37, v18
	v_bfi_b32 v40, 0xffff, v40, v94
	v_pk_add_f16 v4, v4, v22
	v_pk_add_f16 v7, v7, v8
	v_pack_b32_f16 v8, v85, v9
	v_add_f16_sdwa v43, v43, v37 dst_sel:DWORD dst_unused:UNUSED_PAD src0_sel:DWORD src1_sel:WORD_1
	v_add_f16_e32 v15, v15, v59
	v_fmac_f16_e32 v62, 0x388b, v48
	v_pk_fma_f16 v36, 0x3bf1, v23, v34 op_sel:[0,0,1] op_sel_hi:[0,1,0]
	v_pk_add_f16 v10, v25, v13
	v_pk_add_f16 v13, v17, v18
	v_pack_b32_f16 v17, v31, v50
	v_bfi_b32 v41, 0xffff, v41, v87
	v_pk_add_f16 v4, v4, v40
	v_pk_add_f16 v18, v7, v8
	v_pack_b32_f16 v12, v92, v12
	v_add_f16_sdwa v19, v43, v31 dst_sel:DWORD dst_unused:UNUSED_PAD src0_sel:DWORD src1_sel:WORD_1
	v_add_f16_e32 v15, v15, v62
	v_pk_fma_f16 v9, 0x3bf1, v23, v34 op_sel:[0,0,1] op_sel_hi:[0,1,0] neg_lo:[0,1,0] neg_hi:[0,1,0]
	v_pk_add_f16 v13, v13, v17
	v_pack_b32_f16 v17, v36, v52
	v_bfi_b32 v42, 0xffff, v42, v97
	v_pk_add_f16 v4, v4, v41
	v_pk_add_f16 v12, v18, v12
	v_pack_b32_f16 v16, v16, v49
	v_add_f16_sdwa v19, v19, v36 dst_sel:DWORD dst_unused:UNUSED_PAD src0_sel:DWORD src1_sel:WORD_1
	v_pk_add_f16 v7, v10, v9
	v_pk_add_f16 v8, v13, v17
	v_pack_b32_f16 v10, v15, v27
	v_pack_b32_f16 v9, v20, v21
	v_pk_add_f16 v4, v4, v42
	v_alignbit_b32 v12, v12, v12, 16
	ds_write2_b32 v0, v14, v16 offset0:169 offset1:174
	ds_write_b16 v0, v19 offset:700
	ds_write_b128 v0, v[7:10] offset:702
	ds_write_b32 v0, v4 offset:718
	ds_write_b16 v0, v28 offset:722
	ds_write_b32 v0, v12 offset:724
.LBB0_17:
	s_or_b32 exec_lo, exec_lo, s1
	v_add_nc_u16 v10, v3, 0x4e
	v_add_nc_u16 v9, v3, 0x41
	;; [unrolled: 1-line block ×5, first 2 shown]
	v_and_b32_e32 v15, 0xff, v10
	v_and_b32_e32 v16, 0xff, v9
	;; [unrolled: 1-line block ×5, first 2 shown]
	v_mul_lo_u16 v15, 0x4f, v15
	v_mul_lo_u16 v16, 0x4f, v16
	;; [unrolled: 1-line block ×5, first 2 shown]
	v_lshrrev_b16 v15, 10, v15
	v_lshrrev_b16 v16, 10, v16
	;; [unrolled: 1-line block ×5, first 2 shown]
	v_mul_lo_u16 v15, v15, 13
	v_mul_lo_u16 v16, v16, 13
	v_mov_b32_e32 v4, 0
	v_mul_lo_u16 v17, v17, 13
	v_mul_lo_u16 v18, v18, 13
	;; [unrolled: 1-line block ×3, first 2 shown]
	v_mov_b32_e32 v19, 2
	v_sub_nc_u16 v10, v10, v15
	v_sub_nc_u16 v9, v9, v16
	v_lshlrev_b64 v[7:8], 2, v[3:4]
	v_sub_nc_u16 v12, v12, v17
	v_sub_nc_u16 v13, v13, v18
	v_sub_nc_u16 v0, v0, v14
	v_lshlrev_b32_sdwa v20, v19, v10 dst_sel:DWORD dst_unused:UNUSED_PAD src0_sel:DWORD src1_sel:BYTE_0
	v_lshlrev_b32_sdwa v21, v19, v9 dst_sel:DWORD dst_unused:UNUSED_PAD src0_sel:DWORD src1_sel:BYTE_0
	;; [unrolled: 1-line block ×3, first 2 shown]
	v_add_co_u32 v7, s0, s12, v7
	v_lshlrev_b32_sdwa v23, v19, v13 dst_sel:DWORD dst_unused:UNUSED_PAD src0_sel:DWORD src1_sel:BYTE_0
	v_lshlrev_b32_sdwa v24, v19, v0 dst_sel:DWORD dst_unused:UNUSED_PAD src0_sel:DWORD src1_sel:BYTE_0
	s_waitcnt lgkmcnt(0)
	s_barrier
	buffer_gl0_inv
	v_add_co_ci_u32_e64 v8, s0, s13, v8, s0
	s_clause 0x5
	global_load_dword v25, v20, s[12:13]
	global_load_dword v26, v21, s[12:13]
	;; [unrolled: 1-line block ×5, first 2 shown]
	global_load_dword v30, v[7:8], off
	v_lshlrev_b32_e32 v0, 2, v3
	v_add_nc_u32_e32 v31, 0, v11
	v_add3_u32 v7, 0, v0, v11
	ds_read_b32 v32, v7 offset:676
	ds_read2_b32 v[8:9], v7 offset0:143 offset1:156
	v_add_nc_u32_e32 v0, v31, v0
	ds_read2_b32 v[10:11], v7 offset0:117 offset1:130
	ds_read2_b32 v[12:13], v7 offset0:91 offset1:104
	ds_read_b32 v33, v0
	ds_read2_b32 v[14:15], v7 offset0:13 offset1:26
	ds_read2_b32 v[16:17], v7 offset0:39 offset1:52
	ds_read2_b32 v[18:19], v7 offset0:65 offset1:78
	v_add_nc_u32_e32 v24, v31, v24
	v_add_nc_u32_e32 v23, v31, v23
	;; [unrolled: 1-line block ×5, first 2 shown]
	s_waitcnt vmcnt(0) lgkmcnt(0)
	s_barrier
	buffer_gl0_inv
	v_pk_mul_f16 v31, v32, v25 op_sel:[0,1]
	v_pk_mul_f16 v34, v9, v26 op_sel:[0,1]
	v_pk_mul_f16 v35, v8, v27 op_sel:[0,1]
	v_pk_mul_f16 v36, v28, v11 op_sel:[0,1]
	v_pk_mul_f16 v37, v29, v10 op_sel:[0,1]
	v_pk_mul_f16 v38, v30, v12 op_sel:[0,1]
	v_pk_mul_f16 v39, v30, v13 op_sel:[0,1]
	v_pk_fma_f16 v40, v32, v25, v31 op_sel:[0,0,1] op_sel_hi:[1,1,0]
	v_pk_fma_f16 v25, v32, v25, v31 op_sel:[0,0,1] op_sel_hi:[1,0,0] neg_lo:[0,0,1] neg_hi:[0,0,1]
	v_pk_fma_f16 v31, v9, v26, v34 op_sel:[0,0,1] op_sel_hi:[1,1,0]
	v_pk_fma_f16 v9, v9, v26, v34 op_sel:[0,0,1] op_sel_hi:[1,0,0] neg_lo:[0,0,1] neg_hi:[0,0,1]
	;; [unrolled: 2-line block ×7, first 2 shown]
	v_bfi_b32 v10, 0xffff, v28, v10
	v_bfi_b32 v11, 0xffff, v27, v11
	;; [unrolled: 1-line block ×7, first 2 shown]
	v_pk_add_f16 v12, v33, v12 neg_lo:[0,1] neg_hi:[0,1]
	v_pk_add_f16 v10, v15, v10 neg_lo:[0,1] neg_hi:[0,1]
	;; [unrolled: 1-line block ×7, first 2 shown]
	v_pk_fma_f16 v26, v33, 2.0, v12 op_sel_hi:[1,0,1] neg_lo:[0,0,1] neg_hi:[0,0,1]
	v_pk_fma_f16 v14, v14, 2.0, v13 op_sel_hi:[1,0,1] neg_lo:[0,0,1] neg_hi:[0,0,1]
	;; [unrolled: 1-line block ×7, first 2 shown]
	ds_write2_b32 v7, v26, v12 offset1:13
	ds_write2_b32 v7, v14, v13 offset0:26 offset1:39
	ds_write2_b32 v24, v15, v10 offset0:52 offset1:65
	;; [unrolled: 1-line block ×6, first 2 shown]
	s_waitcnt lgkmcnt(0)
	s_barrier
	buffer_gl0_inv
	s_and_saveexec_b32 s0, vcc_lo
	s_cbranch_execz .LBB0_19
; %bb.18:
	v_mul_u32_u24_e32 v8, 6, v3
	v_add_nc_u32_e32 v13, 13, v3
	v_add_nc_u32_e32 v34, 13, v3
	v_mul_lo_u32 v32, s3, v5
	v_mul_lo_u32 v33, s2, v6
	v_lshlrev_b32_e32 v12, 2, v8
	v_mad_u64_u32 v[5:6], null, s2, v5, 0
	v_mul_hi_u32 v36, 0x4ec4ec4f, v34
	v_mul_hi_u32 v35, 0x4ec4ec4f, v3
	s_clause 0x1
	global_load_dwordx4 v[8:11], v12, s[12:13] offset:52
	global_load_dwordx2 v[16:17], v12, s[12:13] offset:68
	v_mul_u32_u24_e32 v12, 6, v13
	v_add3_u32 v6, v6, v33, v32
	v_lshlrev_b32_e32 v18, 2, v12
	v_lshrrev_b32_e32 v32, 3, v36
	s_clause 0x1
	global_load_dwordx4 v[12:15], v18, s[12:13] offset:52
	global_load_dwordx2 v[18:19], v18, s[12:13] offset:68
	ds_read2_b32 v[20:21], v7 offset0:39 offset1:52
	ds_read2_b32 v[22:23], v7 offset0:117 offset1:130
	;; [unrolled: 1-line block ×3, first 2 shown]
	ds_read_b32 v42, v7 offset:676
	ds_read2_b32 v[26:27], v7 offset0:65 offset1:78
	ds_read2_b32 v[28:29], v7 offset0:143 offset1:156
	;; [unrolled: 1-line block ×3, first 2 shown]
	v_lshrrev_b32_e32 v7, 3, v35
	ds_read_b32 v43, v0
	v_lshlrev_b64 v[0:1], 2, v[1:2]
	v_mul_lo_u32 v2, v32, 26
	v_lshlrev_b64 v[5:6], 2, v[5:6]
	v_mul_lo_u32 v7, v7, 26
	v_add_co_u32 v5, vcc_lo, s10, v5
	v_sub_nc_u32_e32 v2, v34, v2
	v_sub_nc_u32_e32 v7, v3, v7
	v_add_co_ci_u32_e32 v6, vcc_lo, s11, v6, vcc_lo
	v_add_co_u32 v56, vcc_lo, v5, v0
	v_mad_u64_u32 v[2:3], null, 0xb6, v32, v[2:3]
	v_mov_b32_e32 v3, v4
	v_add_co_ci_u32_e32 v57, vcc_lo, v6, v1, vcc_lo
	v_lshlrev_b32_e32 v7, 2, v7
	s_waitcnt lgkmcnt(1)
	v_lshrrev_b32_e32 v50, 16, v31
	v_lshrrev_b32_e32 v51, 16, v29
	v_lshlrev_b64 v[0:1], 2, v[2:3]
	v_add_nc_u32_e32 v3, 26, v2
	v_add_co_u32 v5, vcc_lo, v56, v7
	v_add_co_ci_u32_e32 v6, vcc_lo, 0, v57, vcc_lo
	v_lshlrev_b64 v[32:33], 2, v[3:4]
	v_add_nc_u32_e32 v3, 52, v2
	v_add_co_u32 v0, vcc_lo, v56, v0
	v_add_co_ci_u32_e32 v1, vcc_lo, v57, v1, vcc_lo
	;; [unrolled: 4-line block ×4, first 2 shown]
	v_lshlrev_b64 v[38:39], 2, v[3:4]
	v_add_nc_u32_e32 v3, 0x82, v2
	v_add_co_u32 v36, vcc_lo, v56, v36
	v_lshrrev_b32_e32 v54, 16, v21
	v_lshrrev_b32_e32 v55, 16, v23
	v_lshlrev_b64 v[40:41], 2, v[3:4]
	v_add_nc_u32_e32 v3, 0x9c, v2
	v_add_co_ci_u32_e32 v37, vcc_lo, v57, v37, vcc_lo
	v_add_co_u32 v38, vcc_lo, v56, v38
	v_lshlrev_b64 v[2:3], 2, v[3:4]
	v_add_co_ci_u32_e32 v39, vcc_lo, v57, v39, vcc_lo
	v_lshrrev_b32_e32 v44, 16, v20
	v_lshrrev_b32_e32 v45, 16, v42
	;; [unrolled: 1-line block ×8, first 2 shown]
	v_add_co_u32 v40, vcc_lo, v56, v40
	v_add_co_ci_u32_e32 v41, vcc_lo, v57, v41, vcc_lo
	v_add_co_u32 v2, vcc_lo, v56, v2
	v_add_co_ci_u32_e32 v3, vcc_lo, v57, v3, vcc_lo
	s_waitcnt vmcnt(3)
	v_mul_f16_sdwa v4, v8, v50 dst_sel:DWORD dst_unused:UNUSED_PAD src0_sel:WORD_1 src1_sel:DWORD
	s_waitcnt vmcnt(2)
	v_mul_f16_sdwa v7, v17, v51 dst_sel:DWORD dst_unused:UNUSED_PAD src0_sel:WORD_1 src1_sel:DWORD
	v_mul_f16_sdwa v58, v9, v54 dst_sel:DWORD dst_unused:UNUSED_PAD src0_sel:WORD_1 src1_sel:DWORD
	;; [unrolled: 1-line block ×3, first 2 shown]
	v_mul_f16_sdwa v60, v29, v17 dst_sel:DWORD dst_unused:UNUSED_PAD src0_sel:DWORD src1_sel:WORD_1
	v_mul_f16_sdwa v61, v8, v31 dst_sel:DWORD dst_unused:UNUSED_PAD src0_sel:WORD_1 src1_sel:DWORD
	v_mul_f16_sdwa v64, v16, v23 dst_sel:DWORD dst_unused:UNUSED_PAD src0_sel:WORD_1 src1_sel:DWORD
	;; [unrolled: 1-line block ×7, first 2 shown]
	s_waitcnt vmcnt(1)
	v_mul_f16_sdwa v66, v12, v44 dst_sel:DWORD dst_unused:UNUSED_PAD src0_sel:WORD_1 src1_sel:DWORD
	s_waitcnt vmcnt(0)
	v_mul_f16_sdwa v67, v19, v45 dst_sel:DWORD dst_unused:UNUSED_PAD src0_sel:WORD_1 src1_sel:DWORD
	v_mul_f16_sdwa v68, v15, v46 dst_sel:DWORD dst_unused:UNUSED_PAD src0_sel:WORD_1 src1_sel:DWORD
	;; [unrolled: 1-line block ×5, first 2 shown]
	v_mul_f16_sdwa v72, v42, v19 dst_sel:DWORD dst_unused:UNUSED_PAD src0_sel:DWORD src1_sel:WORD_1
	v_mul_f16_sdwa v73, v20, v12 dst_sel:DWORD dst_unused:UNUSED_PAD src0_sel:DWORD src1_sel:WORD_1
	v_mul_f16_sdwa v74, v24, v14 dst_sel:DWORD dst_unused:UNUSED_PAD src0_sel:DWORD src1_sel:WORD_1
	v_mul_f16_sdwa v75, v22, v15 dst_sel:DWORD dst_unused:UNUSED_PAD src0_sel:DWORD src1_sel:WORD_1
	v_mul_f16_sdwa v76, v28, v18 dst_sel:DWORD dst_unused:UNUSED_PAD src0_sel:DWORD src1_sel:WORD_1
	v_mul_f16_sdwa v77, v26, v13 dst_sel:DWORD dst_unused:UNUSED_PAD src0_sel:DWORD src1_sel:WORD_1
	v_fmac_f16_e32 v4, v8, v31
	v_fmac_f16_e32 v7, v17, v29
	;; [unrolled: 1-line block ×4, first 2 shown]
	v_fma_f16 v17, v17, v51, -v60
	v_fma_f16 v8, v8, v50, -v61
	;; [unrolled: 1-line block ×4, first 2 shown]
	v_fmac_f16_e32 v56, v11, v25
	v_fmac_f16_e32 v57, v10, v27
	v_fma_f16 v10, v10, v53, -v62
	v_fma_f16 v11, v11, v52, -v63
	v_fmac_f16_e32 v66, v12, v20
	v_fmac_f16_e32 v67, v19, v42
	;; [unrolled: 1-line block ×6, first 2 shown]
	v_fma_f16 v19, v19, v45, -v72
	v_fma_f16 v12, v12, v44, -v73
	;; [unrolled: 1-line block ×6, first 2 shown]
	v_sub_f16_e32 v20, v4, v7
	v_add_f16_e32 v23, v8, v17
	v_add_f16_e32 v25, v9, v16
	;; [unrolled: 1-line block ×4, first 2 shown]
	v_sub_f16_e32 v21, v56, v57
	v_sub_f16_e32 v22, v58, v59
	v_add_f16_e32 v24, v11, v10
	v_add_f16_e32 v7, v56, v57
	v_sub_f16_e32 v8, v8, v17
	v_sub_f16_e32 v10, v11, v10
	;; [unrolled: 1-line block ×6, first 2 shown]
	v_add_f16_e32 v27, v12, v19
	v_add_f16_e32 v28, v15, v14
	;; [unrolled: 1-line block ×6, first 2 shown]
	v_sub_f16_e32 v12, v12, v19
	v_sub_f16_e32 v14, v15, v14
	;; [unrolled: 1-line block ×3, first 2 shown]
	v_add_f16_e32 v46, v23, v25
	v_add_f16_e32 v49, v4, v26
	v_sub_f16_e32 v15, v20, v21
	v_sub_f16_e32 v18, v21, v22
	v_add_f16_e32 v19, v21, v22
	v_sub_f16_e32 v21, v23, v24
	v_sub_f16_e32 v45, v24, v25
	;; [unrolled: 1-line block ×6, first 2 shown]
	v_add_f16_e32 v10, v10, v9
	v_sub_f16_e32 v22, v22, v20
	v_sub_f16_e32 v23, v25, v23
	;; [unrolled: 1-line block ×6, first 2 shown]
	v_add_f16_e32 v16, v16, v17
	v_sub_f16_e32 v53, v28, v29
	v_add_f16_e32 v54, v27, v29
	v_sub_f16_e32 v56, v42, v44
	v_add_f16_e32 v57, v31, v44
	v_sub_f16_e32 v58, v12, v14
	v_sub_f16_e32 v59, v14, v13
	v_add_f16_e32 v14, v14, v13
	v_sub_f16_e32 v17, v17, v11
	v_sub_f16_e32 v13, v13, v12
	v_add_f16_e32 v24, v24, v46
	v_add_f16_e32 v7, v7, v49
	v_sub_f16_e32 v52, v27, v28
	v_sub_f16_e32 v55, v31, v42
	;; [unrolled: 1-line block ×4, first 2 shown]
	v_mul_f16_e32 v18, 0x3846, v18
	v_add_f16_e32 v19, v20, v19
	v_mul_f16_e32 v20, 0x3a52, v21
	v_mul_f16_e32 v31, 0x2b26, v45
	;; [unrolled: 1-line block ×5, first 2 shown]
	v_add_f16_e32 v8, v8, v10
	v_mul_f16_e32 v10, 0xbb00, v22
	v_mul_f16_e32 v48, 0xbb00, v9
	;; [unrolled: 1-line block ×4, first 2 shown]
	v_add_f16_e32 v28, v28, v54
	v_mul_f16_e32 v53, 0x2b26, v56
	v_add_f16_e32 v42, v42, v57
	v_mul_f16_e32 v54, 0x3846, v59
	;; [unrolled: 2-line block ×3, first 2 shown]
	v_mul_f16_e32 v56, 0xbb00, v13
	s_waitcnt lgkmcnt(0)
	v_add_f16_sdwa v59, v24, v43 dst_sel:DWORD dst_unused:UNUSED_PAD src0_sel:DWORD src1_sel:WORD_1
	v_add_f16_e32 v43, v7, v43
	v_add_f16_e32 v11, v11, v16
	v_mul_f16_e32 v16, 0x3a52, v52
	v_mul_f16_e32 v51, 0x3a52, v55
	v_fmamk_f16 v57, v15, 0xb574, v18
	v_fmamk_f16 v21, v21, 0x3a52, v31
	;; [unrolled: 1-line block ×4, first 2 shown]
	v_fma_f16 v10, v15, 0x3574, -v10
	v_fma_f16 v15, v23, 0xb9e0, -v20
	;; [unrolled: 1-line block ×7, first 2 shown]
	v_fmamk_f16 v22, v25, 0xb574, v26
	v_add_f16_sdwa v45, v28, v30 dst_sel:DWORD dst_unused:UNUSED_PAD src0_sel:DWORD src1_sel:WORD_1
	v_add_f16_e32 v30, v42, v30
	v_fmamk_f16 v48, v58, 0xb574, v54
	v_fma_f16 v14, v25, 0x3574, -v14
	v_fma_f16 v50, v58, 0x3574, -v56
	v_fma_f16 v17, v17, 0xbb00, -v26
	v_fma_f16 v13, v13, 0xbb00, -v54
	v_fmamk_f16 v24, v24, 0xbcab, v59
	v_fmamk_f16 v7, v7, 0xbcab, v43
	v_fma_f16 v23, v23, 0x39e0, -v31
	v_fmamk_f16 v31, v52, 0x3a52, v49
	v_fmamk_f16 v46, v55, 0x3a52, v53
	v_fma_f16 v16, v27, 0xb9e0, -v16
	v_fma_f16 v25, v29, 0xb9e0, -v51
	;; [unrolled: 1-line block ×4, first 2 shown]
	v_fmac_f16_e32 v57, 0xb70e, v19
	v_fmac_f16_e32 v60, 0xb70e, v8
	;; [unrolled: 1-line block ×6, first 2 shown]
	v_pack_b32_f16 v8, v43, v59
	v_fmac_f16_e32 v22, 0xb70e, v11
	v_fmamk_f16 v19, v28, 0xbcab, v45
	v_fmamk_f16 v28, v42, 0xbcab, v30
	v_fmac_f16_e32 v48, 0xb70e, v12
	v_fmac_f16_e32 v14, 0xb70e, v11
	;; [unrolled: 1-line block ×5, first 2 shown]
	v_add_f16_e32 v11, v21, v24
	v_add_f16_e32 v12, v47, v7
	;; [unrolled: 1-line block ×6, first 2 shown]
	global_store_dword v[5:6], v8, off
	v_add_f16_e32 v8, v31, v19
	v_add_f16_e32 v23, v46, v28
	;; [unrolled: 1-line block ×7, first 2 shown]
	v_sub_f16_e32 v27, v12, v60
	v_sub_f16_e32 v11, v11, v57
	v_add_f16_e32 v12, v60, v12
	v_add_f16_e32 v28, v10, v15
	;; [unrolled: 1-line block ×3, first 2 shown]
	v_sub_f16_e32 v4, v4, v9
	v_sub_f16_e32 v9, v15, v10
	v_add_f16_e32 v10, v44, v20
	v_pack_b32_f16 v7, v30, v45
	v_sub_f16_e32 v30, v21, v18
	v_add_f16_e32 v18, v18, v21
	v_sub_f16_e32 v29, v20, v44
	v_add_f16_e32 v15, v22, v8
	;; [unrolled: 2-line block ×4, first 2 shown]
	v_pack_b32_f16 v11, v12, v11
	v_add_f16_e32 v21, v14, v16
	v_sub_f16_e32 v14, v16, v14
	v_add_f16_e32 v16, v50, v24
	v_pack_b32_f16 v9, v10, v9
	v_add_f16_e32 v44, v13, v25
	v_sub_f16_e32 v13, v25, v13
	v_pack_b32_f16 v4, v4, v18
	v_pack_b32_f16 v10, v31, v30
	v_sub_f16_e32 v42, v24, v50
	v_pack_b32_f16 v12, v29, v28
	v_sub_f16_e32 v20, v23, v48
	v_pack_b32_f16 v18, v27, v26
	global_store_dword v[5:6], v11, off offset:104
	global_store_dword v[5:6], v9, off offset:208
	;; [unrolled: 1-line block ×6, first 2 shown]
	global_store_dword v[0:1], v7, off
	v_pack_b32_f16 v0, v19, v8
	v_pack_b32_f16 v1, v16, v14
	;; [unrolled: 1-line block ×6, first 2 shown]
	global_store_dword v[32:33], v0, off
	global_store_dword v[34:35], v1, off
	;; [unrolled: 1-line block ×6, first 2 shown]
.LBB0_19:
	s_endpgm
	.section	.rodata,"a",@progbits
	.p2align	6, 0x0
	.amdhsa_kernel fft_rtc_back_len182_factors_13_2_7_wgs_52_tpt_13_half_op_CI_CI_unitstride_sbrr_dirReg
		.amdhsa_group_segment_fixed_size 0
		.amdhsa_private_segment_fixed_size 0
		.amdhsa_kernarg_size 104
		.amdhsa_user_sgpr_count 6
		.amdhsa_user_sgpr_private_segment_buffer 1
		.amdhsa_user_sgpr_dispatch_ptr 0
		.amdhsa_user_sgpr_queue_ptr 0
		.amdhsa_user_sgpr_kernarg_segment_ptr 1
		.amdhsa_user_sgpr_dispatch_id 0
		.amdhsa_user_sgpr_flat_scratch_init 0
		.amdhsa_user_sgpr_private_segment_size 0
		.amdhsa_wavefront_size32 1
		.amdhsa_uses_dynamic_stack 0
		.amdhsa_system_sgpr_private_segment_wavefront_offset 0
		.amdhsa_system_sgpr_workgroup_id_x 1
		.amdhsa_system_sgpr_workgroup_id_y 0
		.amdhsa_system_sgpr_workgroup_id_z 0
		.amdhsa_system_sgpr_workgroup_info 0
		.amdhsa_system_vgpr_workitem_id 0
		.amdhsa_next_free_vgpr 98
		.amdhsa_next_free_sgpr 27
		.amdhsa_reserve_vcc 1
		.amdhsa_reserve_flat_scratch 0
		.amdhsa_float_round_mode_32 0
		.amdhsa_float_round_mode_16_64 0
		.amdhsa_float_denorm_mode_32 3
		.amdhsa_float_denorm_mode_16_64 3
		.amdhsa_dx10_clamp 1
		.amdhsa_ieee_mode 1
		.amdhsa_fp16_overflow 0
		.amdhsa_workgroup_processor_mode 1
		.amdhsa_memory_ordered 1
		.amdhsa_forward_progress 0
		.amdhsa_shared_vgpr_count 0
		.amdhsa_exception_fp_ieee_invalid_op 0
		.amdhsa_exception_fp_denorm_src 0
		.amdhsa_exception_fp_ieee_div_zero 0
		.amdhsa_exception_fp_ieee_overflow 0
		.amdhsa_exception_fp_ieee_underflow 0
		.amdhsa_exception_fp_ieee_inexact 0
		.amdhsa_exception_int_div_zero 0
	.end_amdhsa_kernel
	.text
.Lfunc_end0:
	.size	fft_rtc_back_len182_factors_13_2_7_wgs_52_tpt_13_half_op_CI_CI_unitstride_sbrr_dirReg, .Lfunc_end0-fft_rtc_back_len182_factors_13_2_7_wgs_52_tpt_13_half_op_CI_CI_unitstride_sbrr_dirReg
                                        ; -- End function
	.section	.AMDGPU.csdata,"",@progbits
; Kernel info:
; codeLenInByte = 10792
; NumSgprs: 29
; NumVgprs: 98
; ScratchSize: 0
; MemoryBound: 0
; FloatMode: 240
; IeeeMode: 1
; LDSByteSize: 0 bytes/workgroup (compile time only)
; SGPRBlocks: 3
; VGPRBlocks: 12
; NumSGPRsForWavesPerEU: 29
; NumVGPRsForWavesPerEU: 98
; Occupancy: 9
; WaveLimiterHint : 1
; COMPUTE_PGM_RSRC2:SCRATCH_EN: 0
; COMPUTE_PGM_RSRC2:USER_SGPR: 6
; COMPUTE_PGM_RSRC2:TRAP_HANDLER: 0
; COMPUTE_PGM_RSRC2:TGID_X_EN: 1
; COMPUTE_PGM_RSRC2:TGID_Y_EN: 0
; COMPUTE_PGM_RSRC2:TGID_Z_EN: 0
; COMPUTE_PGM_RSRC2:TIDIG_COMP_CNT: 0
	.text
	.p2alignl 6, 3214868480
	.fill 48, 4, 3214868480
	.type	__hip_cuid_22f789c0135f5330,@object ; @__hip_cuid_22f789c0135f5330
	.section	.bss,"aw",@nobits
	.globl	__hip_cuid_22f789c0135f5330
__hip_cuid_22f789c0135f5330:
	.byte	0                               ; 0x0
	.size	__hip_cuid_22f789c0135f5330, 1

	.ident	"AMD clang version 19.0.0git (https://github.com/RadeonOpenCompute/llvm-project roc-6.4.0 25133 c7fe45cf4b819c5991fe208aaa96edf142730f1d)"
	.section	".note.GNU-stack","",@progbits
	.addrsig
	.addrsig_sym __hip_cuid_22f789c0135f5330
	.amdgpu_metadata
---
amdhsa.kernels:
  - .args:
      - .actual_access:  read_only
        .address_space:  global
        .offset:         0
        .size:           8
        .value_kind:     global_buffer
      - .offset:         8
        .size:           8
        .value_kind:     by_value
      - .actual_access:  read_only
        .address_space:  global
        .offset:         16
        .size:           8
        .value_kind:     global_buffer
      - .actual_access:  read_only
        .address_space:  global
        .offset:         24
        .size:           8
        .value_kind:     global_buffer
      - .actual_access:  read_only
        .address_space:  global
        .offset:         32
        .size:           8
        .value_kind:     global_buffer
      - .offset:         40
        .size:           8
        .value_kind:     by_value
      - .actual_access:  read_only
        .address_space:  global
        .offset:         48
        .size:           8
        .value_kind:     global_buffer
      - .actual_access:  read_only
        .address_space:  global
        .offset:         56
        .size:           8
        .value_kind:     global_buffer
      - .offset:         64
        .size:           4
        .value_kind:     by_value
      - .actual_access:  read_only
        .address_space:  global
        .offset:         72
        .size:           8
        .value_kind:     global_buffer
      - .actual_access:  read_only
        .address_space:  global
        .offset:         80
        .size:           8
        .value_kind:     global_buffer
      - .actual_access:  read_only
        .address_space:  global
        .offset:         88
        .size:           8
        .value_kind:     global_buffer
      - .actual_access:  write_only
        .address_space:  global
        .offset:         96
        .size:           8
        .value_kind:     global_buffer
    .group_segment_fixed_size: 0
    .kernarg_segment_align: 8
    .kernarg_segment_size: 104
    .language:       OpenCL C
    .language_version:
      - 2
      - 0
    .max_flat_workgroup_size: 52
    .name:           fft_rtc_back_len182_factors_13_2_7_wgs_52_tpt_13_half_op_CI_CI_unitstride_sbrr_dirReg
    .private_segment_fixed_size: 0
    .sgpr_count:     29
    .sgpr_spill_count: 0
    .symbol:         fft_rtc_back_len182_factors_13_2_7_wgs_52_tpt_13_half_op_CI_CI_unitstride_sbrr_dirReg.kd
    .uniform_work_group_size: 1
    .uses_dynamic_stack: false
    .vgpr_count:     98
    .vgpr_spill_count: 0
    .wavefront_size: 32
    .workgroup_processor_mode: 1
amdhsa.target:   amdgcn-amd-amdhsa--gfx1030
amdhsa.version:
  - 1
  - 2
...

	.end_amdgpu_metadata
